;; amdgpu-corpus repo=ggml-org/llama.cpp kind=compiled arch=gfx90a opt=O3
	.text
	.amdgcn_target "amdgcn-amd-amdhsa--gfx90a"
	.amdhsa_code_object_version 6
	.section	.text._ZL12ssm_conv_f32ILb1ELm128ELm3EEvPKfS1_S1_iiiiPfiiil,"axG",@progbits,_ZL12ssm_conv_f32ILb1ELm128ELm3EEvPKfS1_S1_iiiiPfiiil,comdat
	.globl	_ZL12ssm_conv_f32ILb1ELm128ELm3EEvPKfS1_S1_iiiiPfiiil ; -- Begin function _ZL12ssm_conv_f32ILb1ELm128ELm3EEvPKfS1_S1_iiiiPfiiil
	.p2align	8
	.type	_ZL12ssm_conv_f32ILb1ELm128ELm3EEvPKfS1_S1_iiiiPfiiil,@function
_ZL12ssm_conv_f32ILb1ELm128ELm3EEvPKfS1_S1_iiiiPfiiil: ; @_ZL12ssm_conv_f32ILb1ELm128ELm3EEvPKfS1_S1_iiiiPfiiil
; %bb.0:
	s_load_dwordx2 s[0:1], s[4:5], 0x10
	s_mov_b32 s8, s7
	s_ashr_i32 s9, s7, 31
	s_lshl_b64 s[18:19], s[8:9], 7
	v_lshlrev_b32_e32 v10, 2, v0
	s_waitcnt lgkmcnt(0)
	s_cmp_eq_u64 s[0:1], 0
	s_cbranch_scc1 .LBB0_2
; %bb.1:
	s_lshl_b64 s[2:3], s[18:19], 2
	s_add_u32 s0, s0, s2
	s_addc_u32 s1, s1, s3
	global_load_dword v5, v10, s[0:1]
	s_load_dwordx2 s[16:17], s[4:5], 0x40
	s_waitcnt lgkmcnt(0)
	v_cmp_lt_i64_e64 s[0:1], s[16:17], 1
	s_and_b64 vcc, exec, s[0:1]
	s_cbranch_vccz .LBB0_3
	s_branch .LBB0_6
.LBB0_2:
	v_mov_b32_e32 v5, 0
	s_load_dwordx2 s[16:17], s[4:5], 0x40
	s_waitcnt lgkmcnt(0)
	v_cmp_lt_i64_e64 s[0:1], s[16:17], 1
	s_and_b64 vcc, exec, s[0:1]
	s_cbranch_vccnz .LBB0_6
.LBB0_3:
	s_load_dwordx4 s[12:15], s[4:5], 0x1c
	s_load_dwordx4 s[0:3], s[4:5], 0x0
	v_mov_b32_e32 v1, s8
	v_alignbit_b32 v1, s9, v1, 25
	s_waitcnt lgkmcnt(0)
	s_ashr_i32 s7, s14, 31
	s_mul_hi_u32 s8, s18, s14
	s_mul_i32 s7, s18, s7
	v_mul_lo_u32 v1, v1, s14
	s_add_i32 s8, s8, s7
	s_mul_i32 s7, s18, s14
	v_add_u32_e32 v1, s8, v1
	s_ashr_i32 s8, s14, 2
	v_mul_lo_u32 v2, s8, v0
	v_mov_b32_e32 v4, s7
	v_mov_b32_e32 v6, s3
	v_ashrrev_i32_e32 v3, 31, v2
	v_add_co_u32_e32 v4, vcc, s2, v4
	v_addc_co_u32_e32 v1, vcc, v6, v1, vcc
	v_lshlrev_b64 v[2:3], 2, v[2:3]
	v_add_co_u32_e32 v2, vcc, v4, v2
	v_addc_co_u32_e32 v3, vcc, v1, v3, vcc
	global_load_dwordx3 v[2:4], v[2:3], off
	s_load_dwordx2 s[2:3], s[4:5], 0x28
	s_load_dwordx4 s[8:11], s[4:5], 0x30
	s_ashr_i32 s7, s12, 31
	s_waitcnt lgkmcnt(0)
	s_mul_hi_u32 s11, s18, s12
	s_mul_i32 s7, s18, s7
	s_mul_i32 s4, s6, s13
	s_add_i32 s7, s11, s7
	s_mul_i32 s11, s19, s12
	s_mul_i32 s10, s6, s10
	s_ashr_i32 s5, s4, 31
	s_add_i32 s7, s7, s11
	s_ashr_i32 s11, s10, 31
	s_add_u32 s6, s2, s10
	s_addc_u32 s15, s3, s11
	s_ashr_i32 s13, s8, 31
	s_mul_hi_u32 s20, s18, s8
	s_mul_i32 s13, s18, s13
	s_add_i32 s13, s20, s13
	s_mul_i32 s19, s19, s8
	s_add_i32 s13, s13, s19
	s_mul_i32 s8, s18, s8
	s_add_u32 s22, s6, s8
	s_addc_u32 s23, s15, s13
	s_add_u32 s6, s0, s4
	s_mul_i32 s14, s18, s12
	s_addc_u32 s15, s1, s5
	s_add_u32 s6, s6, s14
	s_addc_u32 s15, s15, s7
	s_ashr_i32 s12, s12, 2
	v_mul_lo_u32 v0, s12, v0
	v_ashrrev_i32_e32 v1, 31, v0
	v_lshlrev_b64 v[0:1], 2, v[0:1]
	v_mov_b32_e32 v7, s15
	v_add_co_u32_e32 v6, vcc, s6, v0
	v_addc_co_u32_e32 v7, vcc, v7, v1, vcc
	global_load_dwordx3 v[6:8], v[6:7], off
	s_mov_b32 s18, 0xbfb8aa3b
	s_mov_b32 s19, 0x42ce8ed0
	;; [unrolled: 1-line block ×3, first 2 shown]
	s_cmp_eq_u64 s[16:17], 1
	s_waitcnt vmcnt(0)
	v_fma_f32 v9, v2, v6, 0
	v_fmac_f32_e32 v9, v3, v7
	v_fmac_f32_e32 v9, v4, v8
	v_add_f32_e32 v11, v5, v9
	v_mul_f32_e32 v9, 0xbfb8aa3b, v11
	v_fma_f32 v12, v11, s18, -v9
	v_rndne_f32_e32 v13, v9
	v_fmac_f32_e32 v12, 0xb2a5705f, v11
	v_sub_f32_e32 v9, v9, v13
	v_add_f32_e32 v9, v9, v12
	v_cvt_i32_f32_e32 v13, v13
	v_exp_f32_e32 v12, v9
	v_cmp_nlt_f32_e32 vcc, s19, v11
	v_mov_b32_e32 v9, 0x7f800000
	v_ldexp_f32 v12, v12, v13
	v_cndmask_b32_e32 v12, 0, v12, vcc
	v_cmp_ngt_f32_e32 vcc, s20, v11
	v_cndmask_b32_e32 v12, v9, v12, vcc
	v_add_f32_e32 v12, 1.0, v12
	v_div_scale_f32 v13, s[24:25], v12, v12, v11
	v_rcp_f32_e32 v14, v13
	v_div_scale_f32 v15, vcc, v11, v12, v11
	v_fma_f32 v16, -v13, v14, 1.0
	v_fmac_f32_e32 v14, v16, v14
	v_mul_f32_e32 v16, v15, v14
	v_fma_f32 v17, -v13, v16, v15
	v_fmac_f32_e32 v16, v17, v14
	v_fma_f32 v13, -v13, v16, v15
	v_div_fmas_f32 v13, v13, v14, v16
	v_div_fixup_f32 v11, v13, v12, v11
	global_store_dword v10, v11, s[22:23]
	s_cbranch_scc1 .LBB0_6
; %bb.4:
	s_ashr_i32 s22, s9, 2
	s_ashr_i32 s23, s22, 31
	s_add_u32 s0, s0, s4
	s_addc_u32 s1, s1, s5
	s_add_u32 s0, s0, s14
	s_addc_u32 s1, s1, s7
	s_add_u32 s4, s16, -1
	s_addc_u32 s5, s17, -1
	s_lshl_b64 s[6:7], s[22:23], 2
	v_add_co_u32_e32 v0, vcc, s0, v0
	s_add_u32 s0, s8, s6
	v_mov_b32_e32 v11, s1
	s_addc_u32 s1, s13, s7
	s_add_u32 s2, s2, s10
	v_addc_co_u32_e32 v1, vcc, v11, v1, vcc
	s_addc_u32 s3, s3, s11
	v_add_co_u32_e32 v0, vcc, 12, v0
	s_add_u32 s0, s2, s0
	v_addc_co_u32_e32 v1, vcc, 0, v1, vcc
	s_addc_u32 s1, s3, s1
	v_mov_b32_e32 v11, s1
	v_add_co_u32_e32 v10, vcc, s0, v10
	v_addc_co_u32_e32 v11, vcc, 0, v11, vcc
	s_mov_b64 s[8:9], 1
	s_mov_b64 s[10:11], 3
	;; [unrolled: 1-line block ×4, first 2 shown]
	v_mov_b32_e32 v12, s7
.LBB0_5:                                ; =>This Inner Loop Header: Depth=1
	s_add_u32 s0, 0, 0x55500000
	s_addc_u32 s1, 0, 0x155
	s_mul_hi_u32 s3, s0, -3
	s_add_i32 s1, s1, 0x55555400
	s_sub_i32 s3, s3, s0
	s_mul_i32 s17, s1, -3
	s_mul_i32 s2, s0, -3
	s_add_i32 s3, s3, s17
	s_mul_hi_u32 s7, s0, s2
	s_mul_i32 s21, s0, s3
	s_mul_hi_u32 s17, s0, s3
	s_add_u32 s7, s7, s21
	s_mul_hi_u32 s16, s1, s2
	s_mul_i32 s2, s1, s2
	s_addc_u32 s17, 0, s17
	s_add_u32 s2, s7, s2
	s_mul_hi_u32 s22, s1, s3
	s_addc_u32 s2, s17, s16
	global_load_dword v13, v[0:1], off
	s_mul_i32 s3, s1, s3
	s_addc_u32 s7, s22, 0
	v_add_co_u32_e32 v0, vcc, 4, v0
	s_add_u32 s2, s2, s3
	v_addc_co_u32_e32 v1, vcc, 0, v1, vcc
	v_mov_b32_e32 v14, s2
	s_addc_u32 s3, 0, s7
	v_add_co_u32_e32 v14, vcc, s0, v14
	s_cmp_lg_u64 vcc, 0
	v_readfirstlane_b32 s0, v14
	s_addc_u32 s1, s1, s3
	s_mul_hi_u32 s2, s8, s0
	s_mul_i32 s28, s8, s1
	s_mul_hi_u32 s3, s9, s0
	s_mul_i32 s7, s9, s0
	s_mul_hi_u32 s16, s10, s0
	s_mul_hi_u32 s17, s11, s0
	s_mul_i32 s21, s11, s0
	s_mul_hi_u32 s22, s12, s0
	;; [unrolled: 3-line block ×5, first 2 shown]
	s_mul_i32 s33, s10, s1
	s_mul_hi_u32 s34, s11, s1
	s_mul_i32 s35, s11, s1
	s_mul_hi_u32 s36, s12, s1
	;; [unrolled: 2-line block ×5, first 2 shown]
	s_mul_i32 s43, s15, s1
	s_add_u32 s1, s2, s28
	s_addc_u32 s0, 0, s0
	s_add_u32 s1, s1, s7
	s_addc_u32 s0, s0, s3
	s_addc_u32 s1, s29, 0
	s_add_u32 s0, s0, s30
	s_addc_u32 s1, 0, s1
	s_mul_hi_u32 s2, s0, 3
	s_mul_i32 s0, s0, 3
	s_mul_i32 s1, s1, 3
	v_mov_b32_e32 v14, s0
	s_add_i32 s2, s2, s1
	v_sub_co_u32_e32 v14, vcc, s8, v14
	s_cmp_lg_u64 vcc, 0
	v_subrev_co_u32_e32 v15, vcc, 3, v14
	v_cmp_lt_u32_e64 s[0:1], 2, v14
	s_subb_u32 s2, s9, s2
	v_cndmask_b32_e64 v16, 0, -1, s[0:1]
	v_cmp_lt_u32_e64 s[0:1], 2, v15
	s_cmp_lg_u64 vcc, 0
	v_cndmask_b32_e64 v17, 0, -1, s[0:1]
	s_subb_u32 s0, s2, 0
	s_cmp_eq_u32 s0, 0
	s_cselect_b64 vcc, -1, 0
	v_cndmask_b32_e32 v17, -1, v17, vcc
	v_add_u32_e32 v18, -3, v15
	s_cmp_eq_u32 s2, 0
	v_cmp_ne_u32_e32 vcc, 0, v17
	v_cndmask_b32_e32 v15, v15, v18, vcc
	s_cselect_b64 vcc, -1, 0
	s_add_u32 s0, s16, s33
	s_addc_u32 s1, 0, s31
	s_add_u32 s0, s0, s21
	s_addc_u32 s0, s1, s17
	s_addc_u32 s1, s34, 0
	v_cndmask_b32_e32 v16, -1, v16, vcc
	s_add_u32 s0, s0, s35
	v_cmp_ne_u32_e32 vcc, 0, v16
	s_addc_u32 s1, 0, s1
	s_mul_hi_u32 s2, s0, 3
	s_mul_i32 s0, s0, 3
	v_cndmask_b32_e32 v14, v14, v15, vcc
	s_mul_i32 s1, s1, 3
	v_mov_b32_e32 v15, s0
	s_add_i32 s2, s2, s1
	v_sub_co_u32_e32 v15, vcc, s10, v15
	s_cmp_lg_u64 vcc, 0
	v_subrev_co_u32_e32 v16, vcc, 3, v15
	v_cmp_lt_u32_e64 s[0:1], 2, v15
	s_subb_u32 s2, s11, s2
	v_cndmask_b32_e64 v17, 0, -1, s[0:1]
	v_cmp_lt_u32_e64 s[0:1], 2, v16
	s_cmp_lg_u64 vcc, 0
	v_cndmask_b32_e64 v18, 0, -1, s[0:1]
	s_subb_u32 s0, s2, 0
	s_cmp_eq_u32 s0, 0
	s_cselect_b64 vcc, -1, 0
	v_cndmask_b32_e32 v18, -1, v18, vcc
	v_add_u32_e32 v19, -3, v16
	s_cmp_eq_u32 s2, 0
	v_cmp_ne_u32_e32 vcc, 0, v18
	v_cndmask_b32_e32 v16, v16, v19, vcc
	s_cselect_b64 vcc, -1, 0
	s_add_u32 s0, s22, s37
	s_addc_u32 s1, 0, s36
	s_add_u32 s0, s0, s24
	s_addc_u32 s0, s1, s23
	s_addc_u32 s1, s38, 0
	v_cndmask_b32_e32 v17, -1, v17, vcc
	s_add_u32 s0, s0, s39
	v_cmp_ne_u32_e32 vcc, 0, v17
	s_addc_u32 s1, 0, s1
	s_mul_hi_u32 s2, s0, 3
	s_mul_i32 s0, s0, 3
	v_cndmask_b32_e32 v15, v15, v16, vcc
	;; [unrolled: 33-line block ×3, first 2 shown]
	s_mul_i32 s1, s1, 3
	v_mov_b32_e32 v17, s0
	s_add_i32 s2, s2, s1
	v_sub_co_u32_e32 v17, vcc, s14, v17
	s_cmp_lg_u64 vcc, 0
	v_subrev_co_u32_e32 v18, vcc, 3, v17
	v_cmp_lt_u32_e64 s[0:1], 2, v17
	s_subb_u32 s2, s15, s2
	v_cndmask_b32_e64 v19, 0, -1, s[0:1]
	v_cmp_lt_u32_e64 s[0:1], 2, v18
	s_cmp_lg_u64 vcc, 0
	v_cndmask_b32_e64 v20, 0, -1, s[0:1]
	s_subb_u32 s0, s2, 0
	s_cmp_eq_u32 s0, 0
	s_cselect_b64 vcc, -1, 0
	v_cndmask_b32_e32 v20, -1, v20, vcc
	v_add_u32_e32 v21, -3, v18
	s_cmp_eq_u32 s2, 0
	v_cmp_ne_u32_e32 vcc, 0, v20
	v_cndmask_b32_e32 v18, v18, v21, vcc
	s_cselect_b64 vcc, -1, 0
	v_cndmask_b32_e32 v19, -1, v19, vcc
	v_cmp_ne_u32_e32 vcc, 0, v19
	v_cndmask_b32_e32 v17, v17, v18, vcc
	v_cmp_eq_u32_e32 vcc, 1, v17
	v_cmp_eq_u32_e64 s[0:1], 0, v17
	v_cmp_eq_u32_e64 s[2:3], 2, v17
	s_waitcnt vmcnt(0)
	v_cndmask_b32_e64 v8, v8, v13, s[2:3]
	v_cndmask_b32_e32 v7, v7, v13, vcc
	v_cndmask_b32_e64 v6, v6, v13, s[0:1]
	v_cmp_eq_u32_e64 s[2:3], 1, v14
	v_cmp_eq_u32_e32 vcc, 1, v16
	v_cndmask_b32_e64 v13, v6, v7, s[2:3]
	v_cmp_eq_u32_e64 s[2:3], 2, v14
	v_cmp_eq_u32_e64 s[0:1], 1, v15
	v_cndmask_b32_e32 v17, v6, v7, vcc
	v_cmp_eq_u32_e32 vcc, 2, v16
	v_cndmask_b32_e64 v13, v13, v8, s[2:3]
	v_cndmask_b32_e64 v16, v6, v7, s[0:1]
	v_cmp_eq_u32_e64 s[0:1], 2, v15
	v_cndmask_b32_e32 v14, v17, v8, vcc
	v_fma_f32 v13, v2, v13, 0
	v_cndmask_b32_e64 v15, v16, v8, s[0:1]
	v_fmac_f32_e32 v13, v3, v14
	v_fmac_f32_e32 v13, v4, v15
	v_add_f32_e32 v13, v5, v13
	v_mul_f32_e32 v14, 0xbfb8aa3b, v13
	v_fma_f32 v15, v13, s18, -v14
	v_rndne_f32_e32 v16, v14
	v_fmac_f32_e32 v15, 0xb2a5705f, v13
	v_sub_f32_e32 v14, v14, v16
	v_add_f32_e32 v14, v14, v15
	v_cvt_i32_f32_e32 v16, v16
	v_exp_f32_e32 v14, v14
	v_cmp_nlt_f32_e32 vcc, s19, v13
	s_add_u32 s8, s8, 1
	s_addc_u32 s9, s9, 0
	v_ldexp_f32 v14, v14, v16
	v_cndmask_b32_e32 v14, 0, v14, vcc
	v_cmp_ngt_f32_e32 vcc, s20, v13
	v_cndmask_b32_e32 v14, v9, v14, vcc
	v_add_f32_e32 v14, 1.0, v14
	v_div_scale_f32 v15, s[0:1], v14, v14, v13
	v_rcp_f32_e32 v17, v15
	s_add_u32 s10, s10, 1
	v_div_scale_f32 v16, vcc, v13, v14, v13
	v_fma_f32 v18, -v15, v17, 1.0
	v_fmac_f32_e32 v17, v18, v17
	s_addc_u32 s11, s11, 0
	v_mul_f32_e32 v18, v16, v17
	s_add_u32 s4, s4, -1
	v_fma_f32 v19, -v15, v18, v16
	s_addc_u32 s5, s5, -1
	v_fmac_f32_e32 v18, v19, v17
	s_add_u32 s12, s12, 1
	v_fma_f32 v15, -v15, v18, v16
	s_addc_u32 s13, s13, 0
	v_div_fmas_f32 v15, v15, v17, v18
	s_add_u32 s14, s14, 1
	v_div_fixup_f32 v13, v15, v14, v13
	s_addc_u32 s15, s15, 0
	global_store_dword v[10:11], v13, off
	v_add_co_u32_e32 v10, vcc, s6, v10
	s_cmp_eq_u64 s[4:5], 0
	v_addc_co_u32_e32 v11, vcc, v11, v12, vcc
	s_cbranch_scc0 .LBB0_5
.LBB0_6:
	s_endpgm
	.section	.rodata,"a",@progbits
	.p2align	6, 0x0
	.amdhsa_kernel _ZL12ssm_conv_f32ILb1ELm128ELm3EEvPKfS1_S1_iiiiPfiiil
		.amdhsa_group_segment_fixed_size 0
		.amdhsa_private_segment_fixed_size 0
		.amdhsa_kernarg_size 72
		.amdhsa_user_sgpr_count 6
		.amdhsa_user_sgpr_private_segment_buffer 1
		.amdhsa_user_sgpr_dispatch_ptr 0
		.amdhsa_user_sgpr_queue_ptr 0
		.amdhsa_user_sgpr_kernarg_segment_ptr 1
		.amdhsa_user_sgpr_dispatch_id 0
		.amdhsa_user_sgpr_flat_scratch_init 0
		.amdhsa_user_sgpr_kernarg_preload_length 0
		.amdhsa_user_sgpr_kernarg_preload_offset 0
		.amdhsa_user_sgpr_private_segment_size 0
		.amdhsa_uses_dynamic_stack 0
		.amdhsa_system_sgpr_private_segment_wavefront_offset 0
		.amdhsa_system_sgpr_workgroup_id_x 1
		.amdhsa_system_sgpr_workgroup_id_y 1
		.amdhsa_system_sgpr_workgroup_id_z 0
		.amdhsa_system_sgpr_workgroup_info 0
		.amdhsa_system_vgpr_workitem_id 0
		.amdhsa_next_free_vgpr 22
		.amdhsa_next_free_sgpr 44
		.amdhsa_accum_offset 24
		.amdhsa_reserve_vcc 1
		.amdhsa_reserve_flat_scratch 0
		.amdhsa_float_round_mode_32 0
		.amdhsa_float_round_mode_16_64 0
		.amdhsa_float_denorm_mode_32 3
		.amdhsa_float_denorm_mode_16_64 3
		.amdhsa_dx10_clamp 1
		.amdhsa_ieee_mode 1
		.amdhsa_fp16_overflow 0
		.amdhsa_tg_split 0
		.amdhsa_exception_fp_ieee_invalid_op 0
		.amdhsa_exception_fp_denorm_src 0
		.amdhsa_exception_fp_ieee_div_zero 0
		.amdhsa_exception_fp_ieee_overflow 0
		.amdhsa_exception_fp_ieee_underflow 0
		.amdhsa_exception_fp_ieee_inexact 0
		.amdhsa_exception_int_div_zero 0
	.end_amdhsa_kernel
	.section	.text._ZL12ssm_conv_f32ILb1ELm128ELm3EEvPKfS1_S1_iiiiPfiiil,"axG",@progbits,_ZL12ssm_conv_f32ILb1ELm128ELm3EEvPKfS1_S1_iiiiPfiiil,comdat
.Lfunc_end0:
	.size	_ZL12ssm_conv_f32ILb1ELm128ELm3EEvPKfS1_S1_iiiiPfiiil, .Lfunc_end0-_ZL12ssm_conv_f32ILb1ELm128ELm3EEvPKfS1_S1_iiiiPfiiil
                                        ; -- End function
	.section	.AMDGPU.csdata,"",@progbits
; Kernel info:
; codeLenInByte = 1932
; NumSgprs: 48
; NumVgprs: 22
; NumAgprs: 0
; TotalNumVgprs: 22
; ScratchSize: 0
; MemoryBound: 0
; FloatMode: 240
; IeeeMode: 1
; LDSByteSize: 0 bytes/workgroup (compile time only)
; SGPRBlocks: 5
; VGPRBlocks: 2
; NumSGPRsForWavesPerEU: 48
; NumVGPRsForWavesPerEU: 22
; AccumOffset: 24
; Occupancy: 8
; WaveLimiterHint : 0
; COMPUTE_PGM_RSRC2:SCRATCH_EN: 0
; COMPUTE_PGM_RSRC2:USER_SGPR: 6
; COMPUTE_PGM_RSRC2:TRAP_HANDLER: 0
; COMPUTE_PGM_RSRC2:TGID_X_EN: 1
; COMPUTE_PGM_RSRC2:TGID_Y_EN: 1
; COMPUTE_PGM_RSRC2:TGID_Z_EN: 0
; COMPUTE_PGM_RSRC2:TIDIG_COMP_CNT: 0
; COMPUTE_PGM_RSRC3_GFX90A:ACCUM_OFFSET: 5
; COMPUTE_PGM_RSRC3_GFX90A:TG_SPLIT: 0
	.section	.text._ZL23ssm_conv_long_token_f32ILb1ELm128ELm3ELl32EEvPKfS1_S1_iiiiPfiiil,"axG",@progbits,_ZL23ssm_conv_long_token_f32ILb1ELm128ELm3ELl32EEvPKfS1_S1_iiiiPfiiil,comdat
	.globl	_ZL23ssm_conv_long_token_f32ILb1ELm128ELm3ELl32EEvPKfS1_S1_iiiiPfiiil ; -- Begin function _ZL23ssm_conv_long_token_f32ILb1ELm128ELm3ELl32EEvPKfS1_S1_iiiiPfiiil
	.p2align	8
	.type	_ZL23ssm_conv_long_token_f32ILb1ELm128ELm3ELl32EEvPKfS1_S1_iiiiPfiiil,@function
_ZL23ssm_conv_long_token_f32ILb1ELm128ELm3ELl32EEvPKfS1_S1_iiiiPfiiil: ; @_ZL23ssm_conv_long_token_f32ILb1ELm128ELm3ELl32EEvPKfS1_S1_iiiiPfiiil
; %bb.0:
	s_load_dwordx4 s[0:3], s[4:5], 0x18
	s_load_dwordx2 s[12:13], s[4:5], 0x0
	s_mov_b32 s10, s7
	v_mov_b32_e32 v1, s10
	s_waitcnt lgkmcnt(0)
	s_mul_i32 s2, s6, s2
	s_ashr_i32 s7, s2, 31
	s_add_u32 s2, s12, s2
	s_addc_u32 s7, s13, s7
	s_ashr_i32 s11, s10, 31
	s_lshl_b64 s[12:13], s[10:11], 7
	s_ashr_i32 s9, s1, 31
	s_mul_i32 s9, s12, s9
	s_mul_hi_u32 s10, s12, s1
	v_alignbit_b32 v1, s11, v1, 25
	s_add_i32 s10, s10, s9
	s_mul_i32 s9, s12, s1
	v_mul_lo_u32 v1, v1, s1
	v_mov_b32_e32 v2, s9
	v_add_u32_e32 v1, s10, v1
	v_mov_b32_e32 v3, s7
	v_add_co_u32_e32 v2, vcc, s2, v2
	s_ashr_i32 s9, s8, 31
	v_addc_co_u32_e32 v3, vcc, v3, v1, vcc
	s_lshl_b64 s[14:15], s[8:9], 5
	s_ashr_i32 s2, s0, 31
	v_mov_b32_e32 v1, s8
	v_alignbit_b32 v1, s9, v1, 27
	s_mul_i32 s2, s14, s2
	s_mul_hi_u32 s7, s14, s0
	v_mul_lo_u32 v1, v1, s0
	s_add_i32 s7, s7, s2
	s_mul_i32 s0, s14, s0
	v_add_u32_e32 v4, s7, v1
	v_add_co_u32_e32 v1, vcc, s0, v2
	v_mul_u32_u24_e32 v2, 0x788, v0
	v_lshrrev_b32_e32 v7, 16, v2
	v_mul_lo_u16_e32 v2, 34, v7
	v_sub_u16_e32 v2, v0, v2
	v_or_b32_e32 v6, 0x80, v2
	v_mul_lo_u16_e32 v8, 0xf1, v6
	v_lshrrev_b16_e32 v8, 13, v8
	v_addc_co_u32_e32 v3, vcc, v3, v4, vcc
	s_ashr_i32 s2, s1, 2
	v_add_u32_e32 v15, v7, v8
	v_mul_lo_u16_e32 v8, 34, v8
	v_mad_u64_u32 v[4:5], s[0:1], s2, v7, v[2:3]
	v_sub_u16_e32 v6, v6, v8
	v_ashrrev_i32_e32 v5, 31, v4
	v_and_b32_e32 v6, 0xff, v6
	v_lshlrev_b64 v[4:5], 2, v[4:5]
	v_mad_u64_u32 v[8:9], s[0:1], v15, s2, v[6:7]
	v_add_co_u32_e32 v4, vcc, v1, v4
	v_ashrrev_i32_e32 v9, 31, v8
	v_addc_co_u32_e32 v5, vcc, v3, v5, vcc
	v_lshlrev_b64 v[8:9], 2, v[8:9]
	v_add_co_u32_e32 v10, vcc, v1, v8
	v_or_b32_e32 v8, 0x80, v6
	v_addc_co_u32_e32 v11, vcc, v3, v9, vcc
	v_mul_lo_u16_e32 v9, 0xf1, v8
	v_lshrrev_b16_e32 v9, 13, v9
	v_add_u32_e32 v19, v15, v9
	v_mul_lo_u16_e32 v9, 34, v9
	v_sub_u16_e32 v8, v8, v9
	v_and_b32_e32 v8, 0xff, v8
	v_mad_u64_u32 v[12:13], s[0:1], v19, s2, v[8:9]
	v_or_b32_e32 v9, 0x80, v8
	v_mul_lo_u16_e32 v14, 0xf1, v9
	v_lshrrev_b16_e32 v14, 13, v14
	v_add_u32_e32 v22, v19, v14
	v_mul_lo_u16_e32 v14, 34, v14
	v_sub_u16_e32 v9, v9, v14
	v_and_b32_e32 v14, 0xff, v9
	v_or_b32_e32 v9, 0x80, v14
	v_mul_lo_u16_e32 v18, 0xf1, v9
	v_lshrrev_b16_e32 v18, 13, v18
	v_ashrrev_i32_e32 v13, 31, v12
	v_add_u32_e32 v23, v22, v18
	v_mul_lo_u16_e32 v18, 34, v18
	v_lshlrev_b64 v[12:13], 2, v[12:13]
	v_mad_u64_u32 v[16:17], s[0:1], v22, s2, v[14:15]
	v_sub_u16_e32 v9, v9, v18
	v_add_co_u32_e32 v12, vcc, v1, v12
	v_ashrrev_i32_e32 v17, 31, v16
	v_and_b32_e32 v18, 0xff, v9
	v_addc_co_u32_e32 v13, vcc, v3, v13, vcc
	v_lshlrev_b64 v[16:17], 2, v[16:17]
	v_mad_u64_u32 v[20:21], s[0:1], v23, s2, v[18:19]
	v_add_co_u32_e32 v16, vcc, v1, v16
	v_ashrrev_i32_e32 v21, 31, v20
	v_addc_co_u32_e32 v17, vcc, v3, v17, vcc
	v_lshlrev_b64 v[20:21], 2, v[20:21]
	v_add_co_u32_e32 v20, vcc, v1, v20
	v_addc_co_u32_e32 v21, vcc, v3, v21, vcc
	global_load_dword v24, v[4:5], off
	global_load_dword v25, v[10:11], off
	;; [unrolled: 1-line block ×5, first 2 shown]
	v_or_b32_e32 v4, 0x80, v18
	v_mul_lo_u16_e32 v5, 0xf1, v4
	v_lshrrev_b16_e32 v5, 13, v5
	v_add_u32_e32 v11, v23, v5
	v_mul_lo_u16_e32 v5, 34, v5
	v_sub_u16_e32 v4, v4, v5
	v_and_b32_e32 v10, 0xff, v4
	v_mad_u64_u32 v[4:5], s[0:1], v11, s2, v[10:11]
	v_ashrrev_i32_e32 v5, 31, v4
	v_lshlrev_b64 v[4:5], 2, v[4:5]
	v_add_co_u32_e32 v4, vcc, v1, v4
	v_addc_co_u32_e32 v5, vcc, v3, v5, vcc
	global_load_dword v29, v[4:5], off
	v_mad_u32_u24 v2, v7, 34, v2
	v_lshl_add_u32 v30, v2, 2, 0
	v_or_b32_e32 v2, 0x80, v10
	v_mul_lo_u16_e32 v4, 0xf1, v2
	v_lshrrev_b16_e32 v4, 13, v4
	v_add_u32_e32 v5, v11, v4
	v_mul_lo_u16_e32 v4, 34, v4
	v_sub_u16_e32 v2, v2, v4
	v_and_b32_e32 v2, 0xff, v2
	v_or_b32_e32 v4, 0x80, v2
	v_mul_lo_u16_e32 v7, 0xf1, v4
	v_mad_u64_u32 v[12:13], s[0:1], v5, s2, v[2:3]
	v_lshrrev_b16_e32 v9, 13, v7
	v_ashrrev_i32_e32 v13, 31, v12
	v_add_u32_e32 v7, v5, v9
	v_mul_lo_u16_e32 v9, 34, v9
	v_lshlrev_b64 v[12:13], 2, v[12:13]
	v_sub_u16_e32 v4, v4, v9
	v_add_co_u32_e32 v16, vcc, v1, v12
	v_and_b32_e32 v4, 0xff, v4
	v_addc_co_u32_e32 v17, vcc, v3, v13, vcc
	v_mad_u64_u32 v[12:13], s[0:1], v7, s2, v[4:5]
	v_ashrrev_i32_e32 v13, 31, v12
	v_lshlrev_b64 v[12:13], 2, v[12:13]
	v_add_co_u32_e32 v20, vcc, v1, v12
	v_addc_co_u32_e32 v21, vcc, v3, v13, vcc
	global_load_dword v9, v[16:17], off
	global_load_dword v13, v[20:21], off
	v_mad_u32_u24 v6, v15, 34, v6
	v_lshl_add_u32 v6, v6, 2, 0
	s_movk_i32 s7, 0x80
	s_waitcnt vmcnt(7)
	ds_write_b32 v30, v24
	s_waitcnt vmcnt(6)
	ds_write_b32 v6, v25
	v_mad_u32_u24 v6, v19, 34, v8
	v_lshl_add_u32 v6, v6, 2, 0
	s_waitcnt vmcnt(5)
	ds_write_b32 v6, v26
	v_mad_u32_u24 v6, v22, 34, v14
	v_lshl_add_u32 v6, v6, 2, 0
	;; [unrolled: 4-line block ×4, first 2 shown]
	s_waitcnt vmcnt(2)
	ds_write_b32 v6, v29
	v_or_b32_e32 v6, 0x80, v4
	v_mul_lo_u16_e32 v8, 0xf1, v6
	v_lshrrev_b16_e32 v8, 13, v8
	v_add_u32_e32 v17, v7, v8
	v_mul_lo_u16_e32 v8, 34, v8
	v_sub_u16_e32 v6, v6, v8
	v_and_b32_e32 v6, 0xff, v6
	v_or_b32_e32 v8, 0x80, v6
	v_mul_lo_u16_e32 v12, 0xf1, v8
	v_lshrrev_b16_e32 v12, 13, v12
	v_add_u32_e32 v19, v17, v12
	v_mul_lo_u16_e32 v12, 34, v12
	v_sub_u16_e32 v8, v8, v12
	v_and_b32_e32 v8, 0xff, v8
	;; [unrolled: 7-line block ×3, first 2 shown]
	v_mad_u64_u32 v[10:11], s[0:1], v17, s2, v[6:7]
	v_or_b32_e32 v16, 0x80, v12
	v_ashrrev_i32_e32 v11, 31, v10
	v_mul_lo_u16_e32 v18, 0xf1, v16
	v_lshlrev_b64 v[10:11], 2, v[10:11]
	v_lshrrev_b16_e32 v18, 13, v18
	v_add_co_u32_e32 v10, vcc, v1, v10
	v_add_u32_e32 v47, v43, v18
	s_waitcnt vmcnt(1)
	v_mad_u64_u32 v[14:15], s[0:1], v19, s2, v[8:9]
	v_ashrrev_i32_e32 v15, 31, v14
	v_mul_lo_u16_e32 v18, 34, v18
	v_addc_co_u32_e32 v11, vcc, v3, v11, vcc
	v_lshlrev_b64 v[14:15], 2, v[14:15]
	s_waitcnt vmcnt(0)
	v_mad_u64_u32 v[20:21], s[0:1], v43, s2, v[12:13]
	v_sub_u16_e32 v16, v16, v18
	v_add_co_u32_e32 v14, vcc, v1, v14
	v_ashrrev_i32_e32 v21, 31, v20
	v_and_b32_e32 v16, 0xff, v16
	v_addc_co_u32_e32 v15, vcc, v3, v15, vcc
	v_lshlrev_b64 v[20:21], 2, v[20:21]
	v_mad_u64_u32 v[22:23], s[0:1], v47, s2, v[16:17]
	v_add_co_u32_e32 v20, vcc, v1, v20
	v_ashrrev_i32_e32 v23, 31, v22
	v_addc_co_u32_e32 v21, vcc, v3, v21, vcc
	v_lshlrev_b64 v[22:23], 2, v[22:23]
	v_or_b32_e32 v18, 0x80, v16
	v_add_co_u32_e32 v24, vcc, v1, v22
	v_mul_lo_u16_e32 v22, 0xf1, v18
	v_lshrrev_b16_e32 v22, 13, v22
	v_add_u32_e32 v51, v47, v22
	v_mul_lo_u16_e32 v22, 34, v22
	v_sub_u16_e32 v18, v18, v22
	v_and_b32_e32 v18, 0xff, v18
	v_addc_co_u32_e32 v25, vcc, v3, v23, vcc
	v_mad_u64_u32 v[22:23], s[0:1], v51, s2, v[18:19]
	v_ashrrev_i32_e32 v23, 31, v22
	v_lshlrev_b64 v[22:23], 2, v[22:23]
	v_add_co_u32_e32 v28, vcc, v1, v22
	v_or_b32_e32 v22, 0x80, v18
	v_addc_co_u32_e32 v29, vcc, v3, v23, vcc
	v_mul_lo_u16_e32 v23, 0xf1, v22
	v_lshrrev_b16_e32 v23, 13, v23
	v_add_u32_e32 v54, v51, v23
	v_mul_lo_u16_e32 v23, 34, v23
	v_sub_u16_e32 v22, v22, v23
	v_and_b32_e32 v22, 0xff, v22
	v_mad_u64_u32 v[26:27], s[0:1], v54, s2, v[22:23]
	v_ashrrev_i32_e32 v27, 31, v26
	v_lshlrev_b64 v[26:27], 2, v[26:27]
	v_or_b32_e32 v23, 0x80, v22
	v_add_co_u32_e32 v32, vcc, v1, v26
	v_mul_lo_u16_e32 v26, 0xf1, v23
	v_lshrrev_b16_e32 v26, 13, v26
	v_addc_co_u32_e32 v33, vcc, v3, v27, vcc
	v_add_u32_e32 v27, v54, v26
	v_mul_lo_u16_e32 v26, 34, v26
	v_sub_u16_e32 v23, v23, v26
	v_and_b32_e32 v26, 0xff, v23
	v_mad_u64_u32 v[30:31], s[0:1], v27, s2, v[26:27]
	v_ashrrev_i32_e32 v31, 31, v30
	v_lshlrev_b64 v[30:31], 2, v[30:31]
	v_or_b32_e32 v23, 0x80, v26
	v_add_co_u32_e32 v36, vcc, v1, v30
	v_mul_lo_u16_e32 v30, 0xf1, v23
	v_lshrrev_b16_e32 v30, 13, v30
	v_addc_co_u32_e32 v37, vcc, v3, v31, vcc
	;; [unrolled: 12-line block ×3, first 2 shown]
	v_add_u32_e32 v35, v31, v34
	v_mul_lo_u16_e32 v34, 34, v34
	v_sub_u16_e32 v23, v23, v34
	v_and_b32_e32 v34, 0xff, v23
	v_or_b32_e32 v23, 0x80, v34
	v_mul_lo_u16_e32 v42, 0xf1, v23
	v_lshrrev_b16_e32 v42, 13, v42
	v_add_u32_e32 v55, v35, v42
	v_mul_lo_u16_e32 v42, 34, v42
	v_sub_u16_e32 v23, v23, v42
	v_and_b32_e32 v42, 0xff, v23
	v_or_b32_e32 v23, 0x80, v42
	v_mul_lo_u16_e32 v46, 0xf1, v23
	v_lshrrev_b16_e32 v46, 13, v46
	v_mul_lo_u16_e32 v48, 34, v46
	v_sub_u16_e32 v23, v23, v48
	v_add_u32_e32 v56, v55, v46
	v_and_b32_e32 v46, 0xff, v23
	v_mad_u64_u32 v[40:41], s[0:1], v35, s2, v[34:35]
	v_or_b32_e32 v23, 0x80, v46
	v_ashrrev_i32_e32 v41, 31, v40
	v_mul_lo_u16_e32 v50, 0xf1, v23
	v_lshlrev_b64 v[40:41], 2, v[40:41]
	v_mad_u64_u32 v[44:45], s[0:1], v55, s2, v[42:43]
	v_lshrrev_b16_e32 v50, 13, v50
	v_add_co_u32_e32 v40, vcc, v1, v40
	v_ashrrev_i32_e32 v45, 31, v44
	v_mul_lo_u16_e32 v52, 34, v50
	v_addc_co_u32_e32 v41, vcc, v3, v41, vcc
	v_lshlrev_b64 v[44:45], 2, v[44:45]
	v_mad_u64_u32 v[48:49], s[0:1], v56, s2, v[46:47]
	v_sub_u16_e32 v23, v23, v52
	v_add_co_u32_e32 v44, vcc, v1, v44
	v_ashrrev_i32_e32 v49, 31, v48
	v_add_u32_e32 v57, v56, v50
	v_and_b32_e32 v50, 0xff, v23
	v_addc_co_u32_e32 v45, vcc, v3, v45, vcc
	v_lshlrev_b64 v[48:49], 2, v[48:49]
	v_mad_u64_u32 v[52:53], s[0:1], v57, s2, v[50:51]
	v_add_co_u32_e32 v48, vcc, v1, v48
	v_ashrrev_i32_e32 v53, 31, v52
	v_addc_co_u32_e32 v49, vcc, v3, v49, vcc
	v_lshlrev_b64 v[52:53], 2, v[52:53]
	v_add_co_u32_e32 v52, vcc, v1, v52
	v_addc_co_u32_e32 v53, vcc, v3, v53, vcc
	global_load_dword v23, v[10:11], off
	global_load_dword v58, v[14:15], off
	;; [unrolled: 1-line block ×7, first 2 shown]
                                        ; kill: killed $vgpr14 killed $vgpr15
                                        ; kill: killed $vgpr36 killed $vgpr37
                                        ; kill: killed $vgpr20 killed $vgpr21
                                        ; kill: killed $vgpr24 killed $vgpr25
                                        ; kill: killed $vgpr28 killed $vgpr29
                                        ; kill: killed $vgpr10 killed $vgpr11
                                        ; kill: killed $vgpr32 killed $vgpr33
	global_load_dword v14, v[38:39], off
	global_load_dword v15, v[40:41], off
	;; [unrolled: 1-line block ×5, first 2 shown]
	v_mad_u64_u32 v[10:11], s[0:1], v5, 34, v[2:3]
	v_lshl_add_u32 v2, v10, 2, 0
	v_mad_u64_u32 v[4:5], s[0:1], v7, 34, v[4:5]
	ds_write_b32 v2, v9
	v_lshl_add_u32 v2, v4, 2, 0
	v_mad_u64_u32 v[4:5], s[0:1], v17, 34, v[6:7]
	ds_write_b32 v2, v13
	v_lshl_add_u32 v2, v4, 2, 0
	v_mad_u64_u32 v[4:5], s[0:1], v19, 34, v[8:9]
	s_waitcnt vmcnt(11)
	ds_write_b32 v2, v23
	v_lshl_add_u32 v2, v4, 2, 0
	v_mad_u64_u32 v[4:5], s[0:1], v43, 34, v[12:13]
	s_waitcnt vmcnt(10)
	;; [unrolled: 4-line block ×11, first 2 shown]
	ds_write_b32 v2, v21
	v_lshl_add_u32 v2, v4, 2, 0
	s_waitcnt vmcnt(0)
	ds_write_b32 v2, v24
	v_or_b32_e32 v2, 0x80, v50
	v_mul_lo_u16_e32 v4, 0xf1, v2
	v_lshrrev_b16_e32 v5, 13, v4
	v_add_u32_e32 v4, v57, v5
	v_mul_lo_u16_e32 v5, 34, v5
	v_sub_u16_e32 v2, v2, v5
	v_and_b32_e32 v2, 0xff, v2
	v_cmp_gt_u32_e32 vcc, s7, v4
	s_and_saveexec_b64 s[0:1], vcc
	s_cbranch_execz .LBB1_2
; %bb.1:
	v_mad_u64_u32 v[6:7], s[8:9], v4, s2, v[2:3]
	v_ashrrev_i32_e32 v7, 31, v6
	v_lshlrev_b64 v[6:7], 2, v[6:7]
	v_add_co_u32_e32 v6, vcc, v1, v6
	v_addc_co_u32_e32 v7, vcc, v3, v7, vcc
	global_load_dword v5, v[6:7], off
	v_mad_u64_u32 v[6:7], s[8:9], v4, 34, v[2:3]
	v_lshl_add_u32 v6, v6, 2, 0
	s_waitcnt vmcnt(0)
	ds_write_b32 v6, v5
.LBB1_2:
	s_or_b64 exec, exec, s[0:1]
	v_or_b32_e32 v2, 0x80, v2
	v_mul_lo_u16_e32 v5, 0xf1, v2
	v_lshrrev_b16_e32 v5, 13, v5
	v_add_u32_e32 v4, v4, v5
	v_mul_lo_u16_e32 v5, 34, v5
	v_sub_u16_e32 v2, v2, v5
	v_and_b32_e32 v2, 0xff, v2
	v_cmp_gt_u32_e32 vcc, s7, v4
	s_and_saveexec_b64 s[0:1], vcc
	s_cbranch_execz .LBB1_4
; %bb.3:
	v_mad_u64_u32 v[6:7], s[8:9], v4, s2, v[2:3]
	v_ashrrev_i32_e32 v7, 31, v6
	v_lshlrev_b64 v[6:7], 2, v[6:7]
	v_add_co_u32_e32 v6, vcc, v1, v6
	v_addc_co_u32_e32 v7, vcc, v3, v7, vcc
	global_load_dword v5, v[6:7], off
	v_mad_u64_u32 v[6:7], s[8:9], v4, 34, v[2:3]
	v_lshl_add_u32 v6, v6, 2, 0
	s_waitcnt vmcnt(0)
	ds_write_b32 v6, v5
.LBB1_4:
	s_or_b64 exec, exec, s[0:1]
	v_or_b32_e32 v2, 0x80, v2
	v_mul_lo_u16_e32 v5, 0xf1, v2
	v_lshrrev_b16_e32 v5, 13, v5
	v_add_u32_e32 v4, v4, v5
	v_mul_lo_u16_e32 v5, 34, v5
	v_sub_u16_e32 v2, v2, v5
	v_and_b32_e32 v2, 0xff, v2
	v_cmp_gt_u32_e32 vcc, s7, v4
	s_and_saveexec_b64 s[0:1], vcc
	s_cbranch_execz .LBB1_6
; %bb.5:
	v_mad_u64_u32 v[6:7], s[8:9], v4, s2, v[2:3]
	v_ashrrev_i32_e32 v7, 31, v6
	v_lshlrev_b64 v[6:7], 2, v[6:7]
	v_add_co_u32_e32 v6, vcc, v1, v6
	v_addc_co_u32_e32 v7, vcc, v3, v7, vcc
	global_load_dword v5, v[6:7], off
	v_mad_u64_u32 v[6:7], s[8:9], v4, 34, v[2:3]
	v_lshl_add_u32 v6, v6, 2, 0
	s_waitcnt vmcnt(0)
	ds_write_b32 v6, v5
.LBB1_6:
	s_or_b64 exec, exec, s[0:1]
	v_or_b32_e32 v2, 0x80, v2
	v_mul_lo_u16_e32 v5, 0xf1, v2
	v_lshrrev_b16_e32 v5, 13, v5
	v_add_u32_e32 v4, v4, v5
	v_mul_lo_u16_e32 v5, 34, v5
	v_sub_u16_e32 v2, v2, v5
	v_and_b32_e32 v2, 0xff, v2
	v_cmp_gt_u32_e32 vcc, s7, v4
	s_and_saveexec_b64 s[0:1], vcc
	s_cbranch_execz .LBB1_8
; %bb.7:
	v_mad_u64_u32 v[6:7], s[8:9], v4, s2, v[2:3]
	v_ashrrev_i32_e32 v7, 31, v6
	v_lshlrev_b64 v[6:7], 2, v[6:7]
	v_add_co_u32_e32 v6, vcc, v1, v6
	v_addc_co_u32_e32 v7, vcc, v3, v7, vcc
	global_load_dword v5, v[6:7], off
	v_mad_u64_u32 v[6:7], s[8:9], v4, 34, v[2:3]
	v_lshl_add_u32 v6, v6, 2, 0
	s_waitcnt vmcnt(0)
	ds_write_b32 v6, v5
.LBB1_8:
	s_or_b64 exec, exec, s[0:1]
	v_or_b32_e32 v2, 0x80, v2
	v_mul_lo_u16_e32 v5, 0xf1, v2
	v_lshrrev_b16_e32 v5, 13, v5
	v_add_u32_e32 v4, v4, v5
	v_mul_lo_u16_e32 v5, 34, v5
	v_sub_u16_e32 v2, v2, v5
	v_and_b32_e32 v2, 0xff, v2
	v_cmp_gt_u32_e32 vcc, s7, v4
	s_and_saveexec_b64 s[0:1], vcc
	s_cbranch_execz .LBB1_10
; %bb.9:
	v_mad_u64_u32 v[6:7], s[8:9], v4, s2, v[2:3]
	v_ashrrev_i32_e32 v7, 31, v6
	v_lshlrev_b64 v[6:7], 2, v[6:7]
	v_add_co_u32_e32 v6, vcc, v1, v6
	v_addc_co_u32_e32 v7, vcc, v3, v7, vcc
	global_load_dword v5, v[6:7], off
	v_mad_u64_u32 v[6:7], s[8:9], v4, 34, v[2:3]
	v_lshl_add_u32 v6, v6, 2, 0
	s_waitcnt vmcnt(0)
	ds_write_b32 v6, v5
.LBB1_10:
	s_or_b64 exec, exec, s[0:1]
	v_or_b32_e32 v2, 0x80, v2
	v_mul_lo_u16_e32 v5, 0xf1, v2
	v_lshrrev_b16_e32 v5, 13, v5
	v_add_u32_e32 v4, v4, v5
	v_mul_lo_u16_e32 v5, 34, v5
	v_sub_u16_e32 v2, v2, v5
	v_and_b32_e32 v2, 0xff, v2
	v_cmp_gt_u32_e32 vcc, s7, v4
	s_and_saveexec_b64 s[0:1], vcc
	s_cbranch_execz .LBB1_12
; %bb.11:
	v_mad_u64_u32 v[6:7], s[8:9], v4, s2, v[2:3]
	v_ashrrev_i32_e32 v7, 31, v6
	v_lshlrev_b64 v[6:7], 2, v[6:7]
	v_add_co_u32_e32 v6, vcc, v1, v6
	v_addc_co_u32_e32 v7, vcc, v3, v7, vcc
	global_load_dword v5, v[6:7], off
	v_mad_u64_u32 v[6:7], s[8:9], v4, 34, v[2:3]
	v_lshl_add_u32 v6, v6, 2, 0
	s_waitcnt vmcnt(0)
	ds_write_b32 v6, v5
.LBB1_12:
	s_or_b64 exec, exec, s[0:1]
	v_or_b32_e32 v2, 0x80, v2
	v_mul_lo_u16_e32 v5, 0xf1, v2
	v_lshrrev_b16_e32 v5, 13, v5
	v_add_u32_e32 v4, v4, v5
	v_mul_lo_u16_e32 v5, 34, v5
	s_movk_i32 s0, 0x80
	v_sub_u16_e32 v2, v2, v5
	v_and_b32_e32 v2, 0xff, v2
	v_cmp_gt_u32_e32 vcc, s0, v4
	s_and_saveexec_b64 s[0:1], vcc
	s_cbranch_execz .LBB1_14
; %bb.13:
	v_mad_u64_u32 v[6:7], s[8:9], v4, s2, v[2:3]
	v_ashrrev_i32_e32 v7, 31, v6
	v_lshlrev_b64 v[6:7], 2, v[6:7]
	v_add_co_u32_e32 v6, vcc, v1, v6
	v_addc_co_u32_e32 v7, vcc, v3, v7, vcc
	global_load_dword v5, v[6:7], off
	v_mad_u64_u32 v[6:7], s[8:9], v4, 34, v[2:3]
	v_lshl_add_u32 v6, v6, 2, 0
	s_waitcnt vmcnt(0)
	ds_write_b32 v6, v5
.LBB1_14:
	s_or_b64 exec, exec, s[0:1]
	s_load_dwordx4 s[8:11], s[4:5], 0x8
	s_load_dwordx2 s[16:17], s[4:5], 0x28
	s_movk_i32 s0, 0x380
	v_cmp_gt_u32_e32 vcc, s0, v0
	s_and_saveexec_b64 s[0:1], vcc
	s_cbranch_execz .LBB1_35
; %bb.15:
	v_or_b32_e32 v2, 0x80, v2
	v_mul_lo_u16_e32 v5, 0xf1, v2
	v_lshrrev_b16_e32 v5, 13, v5
	v_add_u32_e32 v4, v4, v5
	v_mul_lo_u16_e32 v5, 34, v5
	v_sub_u16_e32 v2, v2, v5
	v_and_b32_e32 v2, 0xff, v2
	v_cmp_gt_u32_e32 vcc, s7, v4
	s_and_saveexec_b64 s[18:19], vcc
	s_cbranch_execz .LBB1_17
; %bb.16:
	v_mad_u64_u32 v[6:7], s[20:21], v4, s2, v[2:3]
	v_ashrrev_i32_e32 v7, 31, v6
	v_lshlrev_b64 v[6:7], 2, v[6:7]
	v_add_co_u32_e32 v6, vcc, v1, v6
	v_addc_co_u32_e32 v7, vcc, v3, v7, vcc
	global_load_dword v5, v[6:7], off
	v_mad_u64_u32 v[6:7], s[20:21], v4, 34, v[2:3]
	v_lshl_add_u32 v6, v6, 2, 0
	s_waitcnt vmcnt(0)
	ds_write_b32 v6, v5
.LBB1_17:
	s_or_b64 exec, exec, s[18:19]
	s_movk_i32 s7, 0x300
	v_cmp_gt_u32_e32 vcc, s7, v0
	s_and_b64 exec, exec, vcc
	s_cbranch_execz .LBB1_35
; %bb.18:
	v_or_b32_e32 v2, 0x80, v2
	v_mul_lo_u16_e32 v5, 0xf1, v2
	v_lshrrev_b16_e32 v5, 13, v5
	v_add_u32_e32 v4, v4, v5
	v_mul_lo_u16_e32 v5, 34, v5
	s_movk_i32 s7, 0x80
	v_sub_u16_e32 v2, v2, v5
	v_and_b32_e32 v2, 0xff, v2
	v_cmp_gt_u32_e32 vcc, s7, v4
	s_and_saveexec_b64 s[18:19], vcc
	s_cbranch_execz .LBB1_20
; %bb.19:
	v_mad_u64_u32 v[6:7], s[20:21], v4, s2, v[2:3]
	v_ashrrev_i32_e32 v7, 31, v6
	v_lshlrev_b64 v[6:7], 2, v[6:7]
	v_add_co_u32_e32 v6, vcc, v1, v6
	v_addc_co_u32_e32 v7, vcc, v3, v7, vcc
	global_load_dword v5, v[6:7], off
	v_mad_u64_u32 v[6:7], s[20:21], v4, 34, v[2:3]
	v_lshl_add_u32 v6, v6, 2, 0
	s_waitcnt vmcnt(0)
	ds_write_b32 v6, v5
.LBB1_20:
	s_or_b64 exec, exec, s[18:19]
	s_movk_i32 s7, 0x280
	v_cmp_gt_u32_e32 vcc, s7, v0
	s_and_b64 exec, exec, vcc
	s_cbranch_execz .LBB1_35
; %bb.21:
	v_or_b32_e32 v2, 0x80, v2
	v_mul_lo_u16_e32 v5, 0xf1, v2
	v_lshrrev_b16_e32 v5, 13, v5
	v_add_u32_e32 v4, v4, v5
	v_mul_lo_u16_e32 v5, 34, v5
	s_movk_i32 s7, 0x80
	;; [unrolled: 29-line block ×5, first 2 shown]
	v_sub_u16_e32 v2, v2, v5
	v_and_b32_e32 v2, 0xff, v2
	v_cmp_gt_u32_e32 vcc, s7, v4
	s_and_saveexec_b64 s[18:19], vcc
	s_cbranch_execz .LBB1_32
; %bb.31:
	v_mad_u64_u32 v[6:7], s[20:21], v4, s2, v[2:3]
	v_ashrrev_i32_e32 v7, 31, v6
	v_lshlrev_b64 v[6:7], 2, v[6:7]
	v_add_co_u32_e32 v6, vcc, v1, v6
	v_addc_co_u32_e32 v7, vcc, v3, v7, vcc
	global_load_dword v5, v[6:7], off
	v_mad_u64_u32 v[6:7], s[20:21], v4, 34, v[2:3]
	v_lshl_add_u32 v6, v6, 2, 0
	s_waitcnt vmcnt(0)
	ds_write_b32 v6, v5
.LBB1_32:
	s_or_b64 exec, exec, s[18:19]
	v_cmp_gt_u32_e32 vcc, s7, v0
	s_and_b64 exec, exec, vcc
	s_cbranch_execz .LBB1_35
; %bb.33:
	v_or_b32_e32 v5, 0x80, v2
	v_mul_lo_u16_e32 v2, 0xf1, v5
	v_lshrrev_b16_e32 v6, 13, v2
	v_add_u32_e32 v2, v4, v6
	v_cmp_gt_u32_e32 vcc, s7, v2
	s_and_b64 exec, exec, vcc
	s_cbranch_execz .LBB1_35
; %bb.34:
	v_mul_lo_u16_e32 v4, 34, v6
	v_sub_u16_e32 v4, v5, v4
	v_and_b32_e32 v4, 0xff, v4
	v_mad_u64_u32 v[6:7], s[18:19], v2, s2, v[4:5]
	v_ashrrev_i32_e32 v7, 31, v6
	v_lshlrev_b64 v[6:7], 2, v[6:7]
	v_add_co_u32_e32 v6, vcc, v1, v6
	v_addc_co_u32_e32 v7, vcc, v3, v7, vcc
	global_load_dword v1, v[6:7], off
	v_mad_u64_u32 v[2:3], s[18:19], v2, 34, v[4:5]
	v_lshl_add_u32 v2, v2, 2, 0
	s_waitcnt vmcnt(0)
	ds_write_b32 v2, v1
.LBB1_35:
	s_or_b64 exec, exec, s[0:1]
	s_ashr_i32 s0, s3, 31
	s_mul_hi_u32 s1, s12, s3
	s_mul_i32 s0, s12, s0
	s_add_i32 s0, s1, s0
	s_mul_i32 s1, s13, s3
	s_add_i32 s0, s0, s1
	s_mul_i32 s1, s12, s3
	s_waitcnt lgkmcnt(0)
	s_add_u32 s1, s8, s1
	s_addc_u32 s0, s9, s0
	s_ashr_i32 s2, s3, 2
	v_mul_lo_u32 v2, s2, v0
	v_ashrrev_i32_e32 v3, 31, v2
	v_lshlrev_b64 v[2:3], 2, v[2:3]
	v_mov_b32_e32 v1, s0
	v_add_co_u32_e32 v2, vcc, s1, v2
	v_addc_co_u32_e32 v3, vcc, v1, v3, vcc
	s_barrier
	global_load_dwordx3 v[2:4], v[2:3], off
	s_cmp_eq_u64 s[10:11], 0
	v_lshlrev_b32_e32 v14, 2, v0
	s_cbranch_scc1 .LBB1_37
; %bb.36:
	s_lshl_b64 s[0:1], s[12:13], 2
	s_add_u32 s0, s10, s0
	s_addc_u32 s1, s11, s1
	global_load_dword v6, v14, s[0:1]
	s_branch .LBB1_38
.LBB1_37:
	v_mov_b32_e32 v6, 0
.LBB1_38:
	s_load_dwordx2 s[0:1], s[4:5], 0x40
	s_waitcnt lgkmcnt(0)
	s_sub_u32 s0, s0, s14
	s_subb_u32 s1, s1, s15
	v_cmp_lt_i64_e64 s[2:3], s[0:1], 1
	s_and_b64 vcc, exec, s[2:3]
	s_cbranch_vccnz .LBB1_46
; %bb.39:
	s_load_dwordx4 s[8:11], s[4:5], 0x30
	s_waitcnt vmcnt(0)
	v_mov_b32_e32 v8, v3
	v_mov_b32_e32 v9, v4
	s_mov_b32 s5, 0
	v_mul_u32_u24_e32 v15, 34, v0
	s_waitcnt lgkmcnt(0)
	s_ashr_i32 s2, s9, 31
	s_mul_hi_u32 s3, s14, s9
	s_mul_i32 s2, s14, s2
	s_add_i32 s2, s3, s2
	s_mul_i32 s3, s15, s9
	s_add_i32 s15, s2, s3
	s_ashr_i32 s2, s8, 31
	s_mul_hi_u32 s3, s12, s8
	s_mul_i32 s2, s12, s2
	s_mul_i32 s10, s6, s10
	s_add_i32 s2, s3, s2
	s_mul_i32 s3, s13, s8
	s_ashr_i32 s11, s10, 31
	s_add_i32 s13, s2, s3
	s_ashr_i32 s2, s9, 2
	v_cmp_lt_i64_e64 s[6:7], s[0:1], 32
	s_and_b64 s[6:7], s[6:7], exec
	s_cselect_b32 s7, s1, 0
	s_cselect_b32 s6, s0, 32
	s_mul_i32 s14, s14, s9
	s_mul_i32 s12, s12, s8
	v_cmp_gt_i64_e64 s[8:9], s[6:7], 1
	s_and_b64 s[8:9], s[8:9], exec
	s_cselect_b32 s7, s7, 0
	s_cselect_b32 s6, s6, 1
	s_cmp_eq_u64 s[0:1], 1
	s_cselect_b64 s[0:1], -1, 0
	s_cmp_lg_u32 s2, 1
	s_cselect_b64 s[8:9], -1, 0
	s_or_b64 s[0:1], s[0:1], s[8:9]
	s_and_b64 vcc, exec, s[0:1]
	s_cbranch_vccnz .LBB1_43
; %bb.40:
	s_add_u32 s0, s16, s10
	s_addc_u32 s1, s17, s11
	s_add_u32 s0, s0, s14
	v_lshl_add_u32 v17, v15, 2, 0
	s_addc_u32 s1, s1, s15
	ds_read2_b32 v[12:13], v17 offset1:1
	s_add_u32 s0, s0, s12
	s_addc_u32 s1, s1, s13
	v_mov_b32_e32 v1, s1
	v_add_co_u32_e32 v0, vcc, s0, v14
	s_and_b32 s4, s6, 62
	v_addc_co_u32_e32 v1, vcc, 0, v1, vcc
	v_mov_b32_e32 v3, v2
	v_mov_b32_e32 v4, v8
	v_mov_b32_e32 v5, v8
	v_mov_b32_e32 v10, v9
	v_mov_b32_e32 v11, v9
	v_mov_b32_e32 v7, v6
	s_mov_b32 s3, 0xbfb8aa3b
	s_mov_b32 s18, 0x42ce8ed0
	;; [unrolled: 1-line block ×3, first 2 shown]
	v_mov_b32_e32 v16, 0x7f800000
	s_mov_b64 s[8:9], s[4:5]
.LBB1_41:                               ; =>This Inner Loop Header: Depth=1
	s_waitcnt lgkmcnt(0)
	v_pk_fma_f32 v[18:19], v[2:3], v[12:13], 0 op_sel_hi:[1,1,0]
	ds_read2_b32 v[20:21], v17 offset0:1 offset1:2
	ds_read2_b32 v[12:13], v17 offset0:2 offset1:3
	v_add_u32_e32 v22, 8, v17
	v_mov_b32_e32 v17, v22
	s_add_u32 s8, s8, -2
	s_waitcnt lgkmcnt(1)
	v_pk_fma_f32 v[18:19], v[4:5], v[20:21], v[18:19]
	s_waitcnt lgkmcnt(0)
	v_pk_fma_f32 v[18:19], v[10:11], v[12:13], v[18:19]
	v_pk_add_f32 v[18:19], v[6:7], v[18:19]
	v_mul_f32_e32 v20, 0xbfb8aa3b, v19
	v_mul_f32_e32 v21, 0xbfb8aa3b, v18
	v_fma_f32 v22, v19, s3, -v20
	v_rndne_f32_e32 v23, v20
	v_fma_f32 v24, v18, s3, -v21
	v_rndne_f32_e32 v25, v21
	v_fmac_f32_e32 v22, 0xb2a5705f, v19
	v_sub_f32_e32 v20, v20, v23
	v_fmac_f32_e32 v24, 0xb2a5705f, v18
	v_sub_f32_e32 v21, v21, v25
	v_add_f32_e32 v20, v20, v22
	v_add_f32_e32 v21, v21, v24
	v_cvt_i32_f32_e32 v23, v23
	v_cvt_i32_f32_e32 v25, v25
	v_exp_f32_e32 v20, v20
	v_exp_f32_e32 v21, v21
	v_cmp_nlt_f32_e32 vcc, s18, v18
	v_cmp_nlt_f32_e64 s[0:1], s18, v19
	v_ldexp_f32 v20, v20, v23
	v_ldexp_f32 v21, v21, v25
	v_cndmask_b32_e64 v20, 0, v20, s[0:1]
	v_cndmask_b32_e32 v22, 0, v21, vcc
	v_cmp_ngt_f32_e32 vcc, s19, v18
	v_cmp_ngt_f32_e64 s[0:1], s19, v19
	v_cndmask_b32_e64 v21, v16, v20, s[0:1]
	v_cndmask_b32_e32 v20, v16, v22, vcc
	v_pk_add_f32 v[20:21], v[20:21], 1.0 op_sel_hi:[1,0]
	v_div_scale_f32 v22, s[0:1], v21, v21, v19
	v_div_scale_f32 v24, s[0:1], v20, v20, v18
	v_rcp_f32_e32 v26, v22
	v_rcp_f32_e32 v27, v24
	v_div_scale_f32 v23, vcc, v19, v21, v19
	v_fma_f32 v28, -v22, v26, 1.0
	v_fma_f32 v29, -v24, v27, 1.0
	v_fmac_f32_e32 v26, v28, v26
	v_div_scale_f32 v25, s[0:1], v18, v20, v18
	v_fmac_f32_e32 v27, v29, v27
	v_mul_f32_e32 v28, v23, v26
	v_mul_f32_e32 v29, v25, v27
	v_fma_f32 v30, -v22, v28, v23
	v_fma_f32 v31, -v24, v29, v25
	v_fmac_f32_e32 v28, v30, v26
	v_fmac_f32_e32 v29, v31, v27
	v_fma_f32 v22, -v22, v28, v23
	v_fma_f32 v23, -v24, v29, v25
	v_div_fmas_f32 v22, v22, v26, v28
	s_mov_b64 vcc, s[0:1]
	v_div_fixup_f32 v19, v22, v21, v19
	v_div_fmas_f32 v21, v23, v27, v29
	v_div_fixup_f32 v18, v21, v20, v18
	s_addc_u32 s9, s9, -1
	global_store_dwordx2 v[0:1], v[18:19], off
	v_add_co_u32_e32 v0, vcc, 8, v0
	s_cmp_lg_u64 s[8:9], 0
	v_addc_co_u32_e32 v1, vcc, 0, v1, vcc
	s_cbranch_scc1 .LBB1_41
; %bb.42:
	s_cmp_lg_u64 s[6:7], s[4:5]
	s_cselect_b64 s[0:1], -1, 0
	s_and_b64 vcc, exec, s[0:1]
	s_cbranch_vccnz .LBB1_44
	s_branch .LBB1_46
.LBB1_43:
	s_mov_b64 s[4:5], 0
	s_cbranch_execz .LBB1_46
.LBB1_44:
	s_ashr_i32 s3, s2, 31
	s_sub_u32 s6, s4, s6
	s_subb_u32 s7, s5, s7
	s_add_u32 s5, s12, s14
	s_mul_hi_i32 s1, s4, s2
	s_mul_i32 s0, s4, s2
	s_addc_u32 s8, s13, s15
	s_lshl_b64 s[0:1], s[0:1], 2
	s_add_u32 s0, s5, s0
	s_addc_u32 s1, s8, s1
	v_add_u32_e32 v3, s4, v15
	s_add_u32 s5, s16, s10
	v_lshl_add_u32 v10, v3, 2, 0
	s_addc_u32 s8, s17, s11
	ds_read_b32 v4, v10
	s_add_u32 s0, s5, s0
	s_addc_u32 s1, s8, s1
	v_mov_b32_e32 v1, s1
	v_add_co_u32_e32 v0, vcc, s0, v14
	s_lshl_b64 s[2:3], s[2:3], 2
	v_addc_co_u32_e32 v1, vcc, 0, v1, vcc
	s_mov_b32 s4, 0xbfb8aa3b
	s_mov_b32 s5, 0x42ce8ed0
	;; [unrolled: 1-line block ×3, first 2 shown]
	v_mov_b32_e32 v3, 0x7f800000
	v_mov_b32_e32 v7, s3
.LBB1_45:                               ; =>This Inner Loop Header: Depth=1
	s_waitcnt lgkmcnt(0)
	v_fma_f32 v11, v2, v4, 0
	ds_read2_b32 v[4:5], v10 offset0:1 offset1:2
	v_add_u32_e32 v12, 4, v10
	v_mov_b32_e32 v10, v12
	s_add_u32 s6, s6, 1
	s_addc_u32 s7, s7, 0
	s_waitcnt lgkmcnt(0)
	v_pk_mul_f32 v[12:13], v[8:9], v[4:5]
	v_add_f32_e32 v5, v11, v12
	v_add_f32_e32 v5, v5, v13
	;; [unrolled: 1-line block ×3, first 2 shown]
	v_mul_f32_e32 v11, 0xbfb8aa3b, v5
	v_fma_f32 v12, v5, s4, -v11
	v_rndne_f32_e32 v13, v11
	v_fmac_f32_e32 v12, 0xb2a5705f, v5
	v_sub_f32_e32 v11, v11, v13
	v_add_f32_e32 v11, v11, v12
	v_cvt_i32_f32_e32 v13, v13
	v_exp_f32_e32 v11, v11
	v_cmp_nlt_f32_e32 vcc, s5, v5
	s_cmp_eq_u64 s[6:7], 0
	s_cselect_b64 s[0:1], -1, 0
	v_ldexp_f32 v11, v11, v13
	v_cndmask_b32_e32 v11, 0, v11, vcc
	v_cmp_ngt_f32_e32 vcc, s8, v5
	v_cndmask_b32_e32 v11, v3, v11, vcc
	v_add_f32_e32 v11, 1.0, v11
	v_div_scale_f32 v12, s[10:11], v11, v11, v5
	v_rcp_f32_e32 v14, v12
	v_div_scale_f32 v13, vcc, v5, v11, v5
	v_fma_f32 v15, -v12, v14, 1.0
	v_fmac_f32_e32 v14, v15, v14
	v_mul_f32_e32 v15, v13, v14
	v_fma_f32 v16, -v12, v15, v13
	v_fmac_f32_e32 v15, v16, v14
	v_fma_f32 v12, -v12, v15, v13
	v_div_fmas_f32 v12, v12, v14, v15
	v_div_fixup_f32 v5, v12, v11, v5
	s_andn2_b64 vcc, exec, s[0:1]
	global_store_dword v[0:1], v5, off
	v_add_co_u32_e64 v0, s[0:1], s2, v0
	v_addc_co_u32_e64 v1, s[0:1], v1, v7, s[0:1]
	s_cbranch_vccnz .LBB1_45
.LBB1_46:
	s_endpgm
	.section	.rodata,"a",@progbits
	.p2align	6, 0x0
	.amdhsa_kernel _ZL23ssm_conv_long_token_f32ILb1ELm128ELm3ELl32EEvPKfS1_S1_iiiiPfiiil
		.amdhsa_group_segment_fixed_size 0
		.amdhsa_private_segment_fixed_size 0
		.amdhsa_kernarg_size 72
		.amdhsa_user_sgpr_count 6
		.amdhsa_user_sgpr_private_segment_buffer 1
		.amdhsa_user_sgpr_dispatch_ptr 0
		.amdhsa_user_sgpr_queue_ptr 0
		.amdhsa_user_sgpr_kernarg_segment_ptr 1
		.amdhsa_user_sgpr_dispatch_id 0
		.amdhsa_user_sgpr_flat_scratch_init 0
		.amdhsa_user_sgpr_kernarg_preload_length 0
		.amdhsa_user_sgpr_kernarg_preload_offset 0
		.amdhsa_user_sgpr_private_segment_size 0
		.amdhsa_uses_dynamic_stack 0
		.amdhsa_system_sgpr_private_segment_wavefront_offset 0
		.amdhsa_system_sgpr_workgroup_id_x 1
		.amdhsa_system_sgpr_workgroup_id_y 1
		.amdhsa_system_sgpr_workgroup_id_z 1
		.amdhsa_system_sgpr_workgroup_info 0
		.amdhsa_system_vgpr_workitem_id 0
		.amdhsa_next_free_vgpr 64
		.amdhsa_next_free_sgpr 22
		.amdhsa_accum_offset 64
		.amdhsa_reserve_vcc 1
		.amdhsa_reserve_flat_scratch 0
		.amdhsa_float_round_mode_32 0
		.amdhsa_float_round_mode_16_64 0
		.amdhsa_float_denorm_mode_32 3
		.amdhsa_float_denorm_mode_16_64 3
		.amdhsa_dx10_clamp 1
		.amdhsa_ieee_mode 1
		.amdhsa_fp16_overflow 0
		.amdhsa_tg_split 0
		.amdhsa_exception_fp_ieee_invalid_op 0
		.amdhsa_exception_fp_denorm_src 0
		.amdhsa_exception_fp_ieee_div_zero 0
		.amdhsa_exception_fp_ieee_overflow 0
		.amdhsa_exception_fp_ieee_underflow 0
		.amdhsa_exception_fp_ieee_inexact 0
		.amdhsa_exception_int_div_zero 0
	.end_amdhsa_kernel
	.section	.text._ZL23ssm_conv_long_token_f32ILb1ELm128ELm3ELl32EEvPKfS1_S1_iiiiPfiiil,"axG",@progbits,_ZL23ssm_conv_long_token_f32ILb1ELm128ELm3ELl32EEvPKfS1_S1_iiiiPfiiil,comdat
.Lfunc_end1:
	.size	_ZL23ssm_conv_long_token_f32ILb1ELm128ELm3ELl32EEvPKfS1_S1_iiiiPfiiil, .Lfunc_end1-_ZL23ssm_conv_long_token_f32ILb1ELm128ELm3ELl32EEvPKfS1_S1_iiiiPfiiil
                                        ; -- End function
	.section	.AMDGPU.csdata,"",@progbits
; Kernel info:
; codeLenInByte = 5324
; NumSgprs: 26
; NumVgprs: 64
; NumAgprs: 0
; TotalNumVgprs: 64
; ScratchSize: 0
; MemoryBound: 0
; FloatMode: 240
; IeeeMode: 1
; LDSByteSize: 0 bytes/workgroup (compile time only)
; SGPRBlocks: 3
; VGPRBlocks: 7
; NumSGPRsForWavesPerEU: 26
; NumVGPRsForWavesPerEU: 64
; AccumOffset: 64
; Occupancy: 8
; WaveLimiterHint : 0
; COMPUTE_PGM_RSRC2:SCRATCH_EN: 0
; COMPUTE_PGM_RSRC2:USER_SGPR: 6
; COMPUTE_PGM_RSRC2:TRAP_HANDLER: 0
; COMPUTE_PGM_RSRC2:TGID_X_EN: 1
; COMPUTE_PGM_RSRC2:TGID_Y_EN: 1
; COMPUTE_PGM_RSRC2:TGID_Z_EN: 1
; COMPUTE_PGM_RSRC2:TIDIG_COMP_CNT: 0
; COMPUTE_PGM_RSRC3_GFX90A:ACCUM_OFFSET: 15
; COMPUTE_PGM_RSRC3_GFX90A:TG_SPLIT: 0
	.section	.text._ZL12ssm_conv_f32ILb1ELm128ELm4EEvPKfS1_S1_iiiiPfiiil,"axG",@progbits,_ZL12ssm_conv_f32ILb1ELm128ELm4EEvPKfS1_S1_iiiiPfiiil,comdat
	.globl	_ZL12ssm_conv_f32ILb1ELm128ELm4EEvPKfS1_S1_iiiiPfiiil ; -- Begin function _ZL12ssm_conv_f32ILb1ELm128ELm4EEvPKfS1_S1_iiiiPfiiil
	.p2align	8
	.type	_ZL12ssm_conv_f32ILb1ELm128ELm4EEvPKfS1_S1_iiiiPfiiil,@function
_ZL12ssm_conv_f32ILb1ELm128ELm4EEvPKfS1_S1_iiiiPfiiil: ; @_ZL12ssm_conv_f32ILb1ELm128ELm4EEvPKfS1_S1_iiiiPfiiil
; %bb.0:
	s_load_dwordx2 s[0:1], s[4:5], 0x10
	s_mov_b32 s8, s7
	s_ashr_i32 s9, s7, 31
	s_lshl_b64 s[18:19], s[8:9], 7
	v_lshlrev_b32_e32 v10, 2, v0
	s_waitcnt lgkmcnt(0)
	s_cmp_eq_u64 s[0:1], 0
	s_cbranch_scc1 .LBB2_2
; %bb.1:
	s_lshl_b64 s[2:3], s[18:19], 2
	s_add_u32 s0, s0, s2
	s_addc_u32 s1, s1, s3
	global_load_dword v12, v10, s[0:1]
	s_load_dwordx2 s[16:17], s[4:5], 0x40
	s_waitcnt lgkmcnt(0)
	v_cmp_lt_i64_e64 s[0:1], s[16:17], 1
	s_and_b64 vcc, exec, s[0:1]
	s_cbranch_vccz .LBB2_3
	s_branch .LBB2_6
.LBB2_2:
	v_mov_b32_e32 v12, 0
	s_load_dwordx2 s[16:17], s[4:5], 0x40
	s_waitcnt lgkmcnt(0)
	v_cmp_lt_i64_e64 s[0:1], s[16:17], 1
	s_and_b64 vcc, exec, s[0:1]
	s_cbranch_vccnz .LBB2_6
.LBB2_3:
	s_load_dwordx4 s[12:15], s[4:5], 0x1c
	s_load_dwordx4 s[0:3], s[4:5], 0x0
	v_mov_b32_e32 v1, s8
	v_alignbit_b32 v1, s9, v1, 25
	s_waitcnt lgkmcnt(0)
	s_ashr_i32 s7, s14, 31
	s_mul_hi_u32 s8, s18, s14
	s_mul_i32 s7, s18, s7
	v_mul_lo_u32 v1, v1, s14
	s_add_i32 s8, s8, s7
	s_mul_i32 s7, s18, s14
	v_add_u32_e32 v1, s8, v1
	s_ashr_i32 s8, s14, 2
	v_mul_lo_u32 v2, s8, v0
	v_mov_b32_e32 v4, s7
	v_mov_b32_e32 v5, s3
	v_ashrrev_i32_e32 v3, 31, v2
	v_add_co_u32_e32 v4, vcc, s2, v4
	v_addc_co_u32_e32 v1, vcc, v5, v1, vcc
	v_lshlrev_b64 v[2:3], 2, v[2:3]
	v_add_co_u32_e32 v2, vcc, v4, v2
	v_addc_co_u32_e32 v3, vcc, v1, v3, vcc
	global_load_dwordx4 v[2:5], v[2:3], off
	s_load_dwordx2 s[2:3], s[4:5], 0x28
	s_load_dwordx4 s[8:11], s[4:5], 0x30
	s_ashr_i32 s4, s12, 31
	s_mul_hi_u32 s5, s18, s12
	s_mul_i32 s4, s18, s4
	s_add_i32 s4, s5, s4
	s_mul_i32 s5, s19, s12
	s_mul_i32 s7, s6, s13
	s_add_i32 s13, s4, s5
	s_waitcnt lgkmcnt(0)
	s_mul_i32 s4, s6, s10
	s_ashr_i32 s11, s7, 31
	s_ashr_i32 s5, s4, 31
	s_add_u32 s6, s2, s4
	s_addc_u32 s14, s3, s5
	s_ashr_i32 s10, s8, 31
	s_mul_hi_u32 s15, s18, s8
	s_mul_i32 s10, s18, s10
	s_add_i32 s10, s15, s10
	s_mul_i32 s15, s19, s8
	s_add_i32 s10, s10, s15
	s_mul_i32 s19, s18, s8
	s_add_u32 s22, s6, s19
	s_addc_u32 s23, s14, s10
	s_add_u32 s6, s0, s7
	s_mul_i32 s20, s18, s12
	s_addc_u32 s8, s1, s11
	s_add_u32 s6, s6, s20
	s_addc_u32 s8, s8, s13
	s_ashr_i32 s12, s12, 2
	v_mul_lo_u32 v0, s12, v0
	v_ashrrev_i32_e32 v1, 31, v0
	v_lshlrev_b64 v[0:1], 2, v[0:1]
	v_mov_b32_e32 v7, s8
	v_add_co_u32_e32 v6, vcc, s6, v0
	v_addc_co_u32_e32 v7, vcc, v7, v1, vcc
	global_load_dwordx4 v[6:9], v[6:7], off
	s_mov_b32 s14, 0xbfb8aa3b
	s_mov_b32 s15, 0x42ce8ed0
	;; [unrolled: 1-line block ×3, first 2 shown]
	s_cmp_eq_u64 s[16:17], 1
	s_waitcnt vmcnt(0)
	v_fma_f32 v11, v2, v6, 0
	v_fmac_f32_e32 v11, v3, v7
	v_fmac_f32_e32 v11, v4, v8
	;; [unrolled: 1-line block ×3, first 2 shown]
	v_add_f32_e32 v11, v12, v11
	v_mul_f32_e32 v13, 0xbfb8aa3b, v11
	v_fma_f32 v14, v11, s14, -v13
	v_rndne_f32_e32 v15, v13
	v_fmac_f32_e32 v14, 0xb2a5705f, v11
	v_sub_f32_e32 v13, v13, v15
	v_add_f32_e32 v13, v13, v14
	v_cvt_i32_f32_e32 v15, v15
	v_exp_f32_e32 v14, v13
	v_cmp_nlt_f32_e32 vcc, s15, v11
	v_mov_b32_e32 v13, 0x7f800000
	v_ldexp_f32 v14, v14, v15
	v_cndmask_b32_e32 v14, 0, v14, vcc
	v_cmp_ngt_f32_e32 vcc, s18, v11
	v_cndmask_b32_e32 v14, v13, v14, vcc
	v_add_f32_e32 v14, 1.0, v14
	v_div_scale_f32 v15, s[24:25], v14, v14, v11
	v_rcp_f32_e32 v16, v15
	v_div_scale_f32 v17, vcc, v11, v14, v11
	v_fma_f32 v18, -v15, v16, 1.0
	v_fmac_f32_e32 v16, v18, v16
	v_mul_f32_e32 v18, v17, v16
	v_fma_f32 v19, -v15, v18, v17
	v_fmac_f32_e32 v18, v19, v16
	v_fma_f32 v15, -v15, v18, v17
	v_div_fmas_f32 v15, v15, v16, v18
	v_div_fixup_f32 v11, v15, v14, v11
	global_store_dword v10, v11, s[22:23]
	s_cbranch_scc1 .LBB2_6
; %bb.4:
	s_ashr_i32 s8, s9, 2
	s_ashr_i32 s9, s8, 31
	s_add_u32 s0, s0, s7
	s_addc_u32 s1, s1, s11
	s_add_u32 s0, s0, s20
	s_addc_u32 s1, s1, s13
	s_add_u32 s6, s16, -1
	s_addc_u32 s7, s17, -1
	s_lshl_b64 s[8:9], s[8:9], 2
	v_add_co_u32_e32 v0, vcc, s0, v0
	s_add_u32 s0, s19, s8
	v_mov_b32_e32 v11, s1
	s_addc_u32 s1, s10, s9
	s_add_u32 s2, s2, s4
	v_addc_co_u32_e32 v1, vcc, v11, v1, vcc
	s_addc_u32 s3, s3, s5
	v_add_co_u32_e32 v0, vcc, 16, v0
	s_add_u32 s0, s2, s0
	v_addc_co_u32_e32 v1, vcc, 0, v1, vcc
	s_addc_u32 s1, s3, s1
	v_mov_b32_e32 v11, s1
	v_add_co_u32_e32 v10, vcc, s0, v10
	v_addc_co_u32_e32 v11, vcc, 0, v11, vcc
	s_mov_b64 s[10:11], 0
	v_mov_b32_e32 v14, s9
.LBB2_5:                                ; =>This Inner Loop Header: Depth=1
	global_load_dword v15, v[0:1], off
	s_add_u32 s12, s10, 1
	s_addc_u32 s13, s11, 0
	s_add_i32 s0, s10, 4
	v_add_co_u32_e32 v0, vcc, 4, v0
	s_and_b32 s4, s0, 3
	v_addc_co_u32_e32 v1, vcc, 0, v1, vcc
	s_cmp_eq_u32 s4, 3
	s_cselect_b64 vcc, -1, 0
	s_cmp_eq_u32 s4, 2
	s_cselect_b64 s[0:1], -1, 0
	s_cmp_eq_u32 s4, 1
	s_cselect_b64 s[2:3], -1, 0
	;; [unrolled: 2-line block ×3, first 2 shown]
	s_and_b32 s9, s12, 3
	s_cmp_eq_u32 s9, 1
	s_waitcnt vmcnt(0)
	v_cndmask_b32_e32 v9, v9, v15, vcc
	v_cndmask_b32_e64 v7, v7, v15, s[2:3]
	v_cndmask_b32_e64 v6, v6, v15, s[4:5]
	s_cselect_b64 vcc, -1, 0
	s_cmp_eq_u32 s9, 2
	v_cndmask_b32_e64 v8, v8, v15, s[0:1]
	v_cndmask_b32_e32 v16, v6, v7, vcc
	s_cselect_b64 vcc, -1, 0
	s_cmp_eq_u32 s9, 3
	v_cndmask_b32_e32 v16, v16, v8, vcc
	s_cselect_b64 vcc, -1, 0
	s_add_i32 s0, s10, 2
	s_and_b32 s0, s0, 3
	s_cmp_eq_u32 s0, 1
	v_cndmask_b32_e32 v16, v16, v9, vcc
	s_cselect_b64 vcc, -1, 0
	s_cmp_eq_u32 s0, 2
	v_cndmask_b32_e32 v17, v6, v7, vcc
	s_cselect_b64 vcc, -1, 0
	;; [unrolled: 3-line block ×3, first 2 shown]
	s_xor_b32 s0, s9, 2
	s_cmp_eq_u32 s0, 1
	v_fma_f32 v16, v2, v16, 0
	v_cndmask_b32_e32 v17, v17, v9, vcc
	s_cselect_b64 vcc, -1, 0
	s_cmp_eq_u32 s0, 2
	v_fmac_f32_e32 v16, v3, v17
	v_cndmask_b32_e32 v17, v6, v7, vcc
	s_cselect_b64 vcc, -1, 0
	s_cmp_eq_u32 s0, 3
	v_cndmask_b32_e32 v17, v17, v8, vcc
	s_cselect_b64 vcc, -1, 0
	v_cndmask_b32_e32 v17, v17, v9, vcc
	v_fmac_f32_e32 v16, v4, v17
	v_fmac_f32_e32 v16, v5, v15
	v_add_f32_e32 v15, v12, v16
	v_mul_f32_e32 v16, 0xbfb8aa3b, v15
	v_fma_f32 v17, v15, s14, -v16
	v_rndne_f32_e32 v18, v16
	v_fmac_f32_e32 v17, 0xb2a5705f, v15
	v_sub_f32_e32 v16, v16, v18
	v_add_f32_e32 v16, v16, v17
	v_cvt_i32_f32_e32 v18, v18
	v_exp_f32_e32 v16, v16
	v_cmp_nlt_f32_e32 vcc, s15, v15
	s_mov_b64 s[10:11], s[12:13]
	s_cmp_eq_u64 s[6:7], s[12:13]
	v_ldexp_f32 v16, v16, v18
	v_cndmask_b32_e32 v16, 0, v16, vcc
	v_cmp_ngt_f32_e32 vcc, s18, v15
	v_cndmask_b32_e32 v16, v13, v16, vcc
	v_add_f32_e32 v16, 1.0, v16
	v_div_scale_f32 v17, s[0:1], v16, v16, v15
	v_rcp_f32_e32 v19, v17
	v_div_scale_f32 v18, vcc, v15, v16, v15
	v_fma_f32 v20, -v17, v19, 1.0
	v_fmac_f32_e32 v19, v20, v19
	v_mul_f32_e32 v20, v18, v19
	v_fma_f32 v21, -v17, v20, v18
	v_fmac_f32_e32 v20, v21, v19
	v_fma_f32 v17, -v17, v20, v18
	v_div_fmas_f32 v17, v17, v19, v20
	v_div_fixup_f32 v15, v17, v16, v15
	global_store_dword v[10:11], v15, off
	v_add_co_u32_e32 v10, vcc, s8, v10
	v_addc_co_u32_e32 v11, vcc, v11, v14, vcc
	s_cbranch_scc0 .LBB2_5
.LBB2_6:
	s_endpgm
	.section	.rodata,"a",@progbits
	.p2align	6, 0x0
	.amdhsa_kernel _ZL12ssm_conv_f32ILb1ELm128ELm4EEvPKfS1_S1_iiiiPfiiil
		.amdhsa_group_segment_fixed_size 0
		.amdhsa_private_segment_fixed_size 0
		.amdhsa_kernarg_size 72
		.amdhsa_user_sgpr_count 6
		.amdhsa_user_sgpr_private_segment_buffer 1
		.amdhsa_user_sgpr_dispatch_ptr 0
		.amdhsa_user_sgpr_queue_ptr 0
		.amdhsa_user_sgpr_kernarg_segment_ptr 1
		.amdhsa_user_sgpr_dispatch_id 0
		.amdhsa_user_sgpr_flat_scratch_init 0
		.amdhsa_user_sgpr_kernarg_preload_length 0
		.amdhsa_user_sgpr_kernarg_preload_offset 0
		.amdhsa_user_sgpr_private_segment_size 0
		.amdhsa_uses_dynamic_stack 0
		.amdhsa_system_sgpr_private_segment_wavefront_offset 0
		.amdhsa_system_sgpr_workgroup_id_x 1
		.amdhsa_system_sgpr_workgroup_id_y 1
		.amdhsa_system_sgpr_workgroup_id_z 0
		.amdhsa_system_sgpr_workgroup_info 0
		.amdhsa_system_vgpr_workitem_id 0
		.amdhsa_next_free_vgpr 22
		.amdhsa_next_free_sgpr 26
		.amdhsa_accum_offset 24
		.amdhsa_reserve_vcc 1
		.amdhsa_reserve_flat_scratch 0
		.amdhsa_float_round_mode_32 0
		.amdhsa_float_round_mode_16_64 0
		.amdhsa_float_denorm_mode_32 3
		.amdhsa_float_denorm_mode_16_64 3
		.amdhsa_dx10_clamp 1
		.amdhsa_ieee_mode 1
		.amdhsa_fp16_overflow 0
		.amdhsa_tg_split 0
		.amdhsa_exception_fp_ieee_invalid_op 0
		.amdhsa_exception_fp_denorm_src 0
		.amdhsa_exception_fp_ieee_div_zero 0
		.amdhsa_exception_fp_ieee_overflow 0
		.amdhsa_exception_fp_ieee_underflow 0
		.amdhsa_exception_fp_ieee_inexact 0
		.amdhsa_exception_int_div_zero 0
	.end_amdhsa_kernel
	.section	.text._ZL12ssm_conv_f32ILb1ELm128ELm4EEvPKfS1_S1_iiiiPfiiil,"axG",@progbits,_ZL12ssm_conv_f32ILb1ELm128ELm4EEvPKfS1_S1_iiiiPfiiil,comdat
.Lfunc_end2:
	.size	_ZL12ssm_conv_f32ILb1ELm128ELm4EEvPKfS1_S1_iiiiPfiiil, .Lfunc_end2-_ZL12ssm_conv_f32ILb1ELm128ELm4EEvPKfS1_S1_iiiiPfiiil
                                        ; -- End function
	.section	.AMDGPU.csdata,"",@progbits
; Kernel info:
; codeLenInByte = 1148
; NumSgprs: 30
; NumVgprs: 22
; NumAgprs: 0
; TotalNumVgprs: 22
; ScratchSize: 0
; MemoryBound: 0
; FloatMode: 240
; IeeeMode: 1
; LDSByteSize: 0 bytes/workgroup (compile time only)
; SGPRBlocks: 3
; VGPRBlocks: 2
; NumSGPRsForWavesPerEU: 30
; NumVGPRsForWavesPerEU: 22
; AccumOffset: 24
; Occupancy: 8
; WaveLimiterHint : 0
; COMPUTE_PGM_RSRC2:SCRATCH_EN: 0
; COMPUTE_PGM_RSRC2:USER_SGPR: 6
; COMPUTE_PGM_RSRC2:TRAP_HANDLER: 0
; COMPUTE_PGM_RSRC2:TGID_X_EN: 1
; COMPUTE_PGM_RSRC2:TGID_Y_EN: 1
; COMPUTE_PGM_RSRC2:TGID_Z_EN: 0
; COMPUTE_PGM_RSRC2:TIDIG_COMP_CNT: 0
; COMPUTE_PGM_RSRC3_GFX90A:ACCUM_OFFSET: 5
; COMPUTE_PGM_RSRC3_GFX90A:TG_SPLIT: 0
	.section	.text._ZL23ssm_conv_long_token_f32ILb1ELm128ELm4ELl32EEvPKfS1_S1_iiiiPfiiil,"axG",@progbits,_ZL23ssm_conv_long_token_f32ILb1ELm128ELm4ELl32EEvPKfS1_S1_iiiiPfiiil,comdat
	.globl	_ZL23ssm_conv_long_token_f32ILb1ELm128ELm4ELl32EEvPKfS1_S1_iiiiPfiiil ; -- Begin function _ZL23ssm_conv_long_token_f32ILb1ELm128ELm4ELl32EEvPKfS1_S1_iiiiPfiiil
	.p2align	8
	.type	_ZL23ssm_conv_long_token_f32ILb1ELm128ELm4ELl32EEvPKfS1_S1_iiiiPfiiil,@function
_ZL23ssm_conv_long_token_f32ILb1ELm128ELm4ELl32EEvPKfS1_S1_iiiiPfiiil: ; @_ZL23ssm_conv_long_token_f32ILb1ELm128ELm4ELl32EEvPKfS1_S1_iiiiPfiiil
; %bb.0:
	s_load_dwordx4 s[0:3], s[4:5], 0x18
	s_load_dwordx2 s[12:13], s[4:5], 0x0
	s_mov_b32 s10, s7
	v_mov_b32_e32 v1, s10
	s_waitcnt lgkmcnt(0)
	s_mul_i32 s2, s6, s2
	s_ashr_i32 s7, s2, 31
	s_add_u32 s2, s12, s2
	s_addc_u32 s7, s13, s7
	s_ashr_i32 s11, s10, 31
	s_lshl_b64 s[12:13], s[10:11], 7
	s_ashr_i32 s9, s1, 31
	s_mul_i32 s9, s12, s9
	s_mul_hi_u32 s10, s12, s1
	v_alignbit_b32 v1, s11, v1, 25
	s_add_i32 s10, s10, s9
	s_mul_i32 s9, s12, s1
	v_mul_lo_u32 v1, v1, s1
	v_mov_b32_e32 v2, s9
	v_add_u32_e32 v1, s10, v1
	v_mov_b32_e32 v3, s7
	v_add_co_u32_e32 v2, vcc, s2, v2
	s_ashr_i32 s9, s8, 31
	v_addc_co_u32_e32 v3, vcc, v3, v1, vcc
	s_lshl_b64 s[14:15], s[8:9], 5
	s_ashr_i32 s2, s0, 31
	v_mov_b32_e32 v1, s8
	v_alignbit_b32 v1, s9, v1, 27
	s_mul_i32 s2, s14, s2
	s_mul_hi_u32 s7, s14, s0
	v_mul_lo_u32 v1, v1, s0
	s_add_i32 s7, s7, s2
	s_mul_i32 s0, s14, s0
	v_add_u32_e32 v4, s7, v1
	v_add_co_u32_e32 v1, vcc, s0, v2
	v_mul_u32_u24_e32 v2, 0x751, v0
	v_lshrrev_b32_e32 v7, 16, v2
	v_mul_lo_u16_e32 v2, 35, v7
	v_sub_u16_e32 v2, v0, v2
	v_or_b32_e32 v6, 0x80, v2
	v_mul_lo_u16_e32 v8, 0xeb, v6
	v_lshrrev_b16_e32 v8, 13, v8
	v_addc_co_u32_e32 v3, vcc, v3, v4, vcc
	s_ashr_i32 s2, s1, 2
	v_add_u32_e32 v15, v7, v8
	v_mul_lo_u16_e32 v8, 35, v8
	v_mad_u64_u32 v[4:5], s[0:1], s2, v7, v[2:3]
	v_sub_u16_e32 v6, v6, v8
	v_ashrrev_i32_e32 v5, 31, v4
	v_and_b32_e32 v6, 0xff, v6
	v_lshlrev_b64 v[4:5], 2, v[4:5]
	v_mad_u64_u32 v[8:9], s[0:1], v15, s2, v[6:7]
	v_add_co_u32_e32 v4, vcc, v1, v4
	v_ashrrev_i32_e32 v9, 31, v8
	v_addc_co_u32_e32 v5, vcc, v3, v5, vcc
	v_lshlrev_b64 v[8:9], 2, v[8:9]
	v_add_co_u32_e32 v10, vcc, v1, v8
	v_or_b32_e32 v8, 0x80, v6
	v_addc_co_u32_e32 v11, vcc, v3, v9, vcc
	v_mul_lo_u16_e32 v9, 0xeb, v8
	v_lshrrev_b16_e32 v9, 13, v9
	v_add_u32_e32 v19, v15, v9
	v_mul_lo_u16_e32 v9, 35, v9
	v_sub_u16_e32 v8, v8, v9
	v_and_b32_e32 v8, 0xff, v8
	v_mad_u64_u32 v[12:13], s[0:1], v19, s2, v[8:9]
	v_or_b32_e32 v9, 0x80, v8
	v_mul_lo_u16_e32 v14, 0xeb, v9
	v_lshrrev_b16_e32 v14, 13, v14
	v_add_u32_e32 v22, v19, v14
	v_mul_lo_u16_e32 v14, 35, v14
	v_sub_u16_e32 v9, v9, v14
	v_and_b32_e32 v14, 0xff, v9
	v_or_b32_e32 v9, 0x80, v14
	v_mul_lo_u16_e32 v18, 0xeb, v9
	v_lshrrev_b16_e32 v18, 13, v18
	v_ashrrev_i32_e32 v13, 31, v12
	v_add_u32_e32 v23, v22, v18
	v_mul_lo_u16_e32 v18, 35, v18
	v_lshlrev_b64 v[12:13], 2, v[12:13]
	v_mad_u64_u32 v[16:17], s[0:1], v22, s2, v[14:15]
	v_sub_u16_e32 v9, v9, v18
	v_add_co_u32_e32 v12, vcc, v1, v12
	v_ashrrev_i32_e32 v17, 31, v16
	v_and_b32_e32 v18, 0xff, v9
	v_addc_co_u32_e32 v13, vcc, v3, v13, vcc
	v_lshlrev_b64 v[16:17], 2, v[16:17]
	v_mad_u64_u32 v[20:21], s[0:1], v23, s2, v[18:19]
	v_add_co_u32_e32 v16, vcc, v1, v16
	v_ashrrev_i32_e32 v21, 31, v20
	v_addc_co_u32_e32 v17, vcc, v3, v17, vcc
	v_lshlrev_b64 v[20:21], 2, v[20:21]
	v_add_co_u32_e32 v20, vcc, v1, v20
	v_addc_co_u32_e32 v21, vcc, v3, v21, vcc
	global_load_dword v24, v[4:5], off
	global_load_dword v25, v[10:11], off
	global_load_dword v26, v[12:13], off
	global_load_dword v27, v[16:17], off
	global_load_dword v28, v[20:21], off
	v_or_b32_e32 v4, 0x80, v18
	v_mul_lo_u16_e32 v5, 0xeb, v4
	v_lshrrev_b16_e32 v5, 13, v5
	v_add_u32_e32 v11, v23, v5
	v_mul_lo_u16_e32 v5, 35, v5
	v_sub_u16_e32 v4, v4, v5
	v_and_b32_e32 v10, 0xff, v4
	v_mad_u64_u32 v[4:5], s[0:1], v11, s2, v[10:11]
	v_ashrrev_i32_e32 v5, 31, v4
	v_lshlrev_b64 v[4:5], 2, v[4:5]
	v_add_co_u32_e32 v4, vcc, v1, v4
	v_addc_co_u32_e32 v5, vcc, v3, v5, vcc
	global_load_dword v29, v[4:5], off
	v_mad_u32_u24 v2, v7, 35, v2
	v_lshl_add_u32 v30, v2, 2, 0
	v_or_b32_e32 v2, 0x80, v10
	v_mul_lo_u16_e32 v4, 0xeb, v2
	v_lshrrev_b16_e32 v4, 13, v4
	v_add_u32_e32 v5, v11, v4
	v_mul_lo_u16_e32 v4, 35, v4
	v_sub_u16_e32 v2, v2, v4
	v_and_b32_e32 v2, 0xff, v2
	v_or_b32_e32 v4, 0x80, v2
	v_mul_lo_u16_e32 v7, 0xeb, v4
	v_mad_u64_u32 v[12:13], s[0:1], v5, s2, v[2:3]
	v_lshrrev_b16_e32 v9, 13, v7
	v_ashrrev_i32_e32 v13, 31, v12
	v_add_u32_e32 v7, v5, v9
	v_mul_lo_u16_e32 v9, 35, v9
	v_lshlrev_b64 v[12:13], 2, v[12:13]
	v_sub_u16_e32 v4, v4, v9
	v_add_co_u32_e32 v16, vcc, v1, v12
	v_and_b32_e32 v4, 0xff, v4
	v_addc_co_u32_e32 v17, vcc, v3, v13, vcc
	v_mad_u64_u32 v[12:13], s[0:1], v7, s2, v[4:5]
	v_ashrrev_i32_e32 v13, 31, v12
	v_lshlrev_b64 v[12:13], 2, v[12:13]
	v_add_co_u32_e32 v20, vcc, v1, v12
	v_addc_co_u32_e32 v21, vcc, v3, v13, vcc
	global_load_dword v9, v[16:17], off
	global_load_dword v13, v[20:21], off
	v_mad_u32_u24 v6, v15, 35, v6
	v_lshl_add_u32 v6, v6, 2, 0
	s_movk_i32 s7, 0x80
	s_waitcnt vmcnt(7)
	ds_write_b32 v30, v24
	s_waitcnt vmcnt(6)
	ds_write_b32 v6, v25
	v_mad_u32_u24 v6, v19, 35, v8
	v_lshl_add_u32 v6, v6, 2, 0
	s_waitcnt vmcnt(5)
	ds_write_b32 v6, v26
	v_mad_u32_u24 v6, v22, 35, v14
	v_lshl_add_u32 v6, v6, 2, 0
	;; [unrolled: 4-line block ×4, first 2 shown]
	s_waitcnt vmcnt(2)
	ds_write_b32 v6, v29
	v_or_b32_e32 v6, 0x80, v4
	v_mul_lo_u16_e32 v8, 0xeb, v6
	v_lshrrev_b16_e32 v8, 13, v8
	v_add_u32_e32 v17, v7, v8
	v_mul_lo_u16_e32 v8, 35, v8
	v_sub_u16_e32 v6, v6, v8
	v_and_b32_e32 v6, 0xff, v6
	v_or_b32_e32 v8, 0x80, v6
	v_mul_lo_u16_e32 v12, 0xeb, v8
	v_lshrrev_b16_e32 v12, 13, v12
	v_add_u32_e32 v21, v17, v12
	v_mul_lo_u16_e32 v12, 35, v12
	v_sub_u16_e32 v8, v8, v12
	v_and_b32_e32 v8, 0xff, v8
	;; [unrolled: 7-line block ×3, first 2 shown]
	v_or_b32_e32 v16, 0x80, v12
	v_mul_lo_u16_e32 v20, 0xeb, v16
	v_lshrrev_b16_e32 v20, 13, v20
	v_add_u32_e32 v47, v43, v20
	v_mul_lo_u16_e32 v20, 35, v20
	v_mad_u64_u32 v[10:11], s[0:1], v17, s2, v[6:7]
	v_sub_u16_e32 v16, v16, v20
	v_ashrrev_i32_e32 v11, 31, v10
	v_and_b32_e32 v16, 0xff, v16
	v_lshlrev_b64 v[10:11], 2, v[10:11]
	s_waitcnt vmcnt(1)
	v_mad_u64_u32 v[14:15], s[0:1], v21, s2, v[8:9]
	v_or_b32_e32 v20, 0x80, v16
	v_add_co_u32_e32 v10, vcc, v1, v10
	v_ashrrev_i32_e32 v15, 31, v14
	v_mul_lo_u16_e32 v24, 0xeb, v20
	v_addc_co_u32_e32 v11, vcc, v3, v11, vcc
	v_lshlrev_b64 v[14:15], 2, v[14:15]
	s_waitcnt vmcnt(0)
	v_mad_u64_u32 v[18:19], s[0:1], v43, s2, v[12:13]
	v_lshrrev_b16_e32 v24, 13, v24
	v_add_co_u32_e32 v14, vcc, v1, v14
	v_ashrrev_i32_e32 v19, 31, v18
	v_add_u32_e32 v51, v47, v24
	v_mul_lo_u16_e32 v24, 35, v24
	v_addc_co_u32_e32 v15, vcc, v3, v15, vcc
	v_lshlrev_b64 v[18:19], 2, v[18:19]
	v_mad_u64_u32 v[22:23], s[0:1], v47, s2, v[16:17]
	v_sub_u16_e32 v20, v20, v24
	v_add_co_u32_e32 v18, vcc, v1, v18
	v_ashrrev_i32_e32 v23, 31, v22
	v_and_b32_e32 v20, 0xff, v20
	v_addc_co_u32_e32 v19, vcc, v3, v19, vcc
	v_lshlrev_b64 v[22:23], 2, v[22:23]
	v_mad_u64_u32 v[24:25], s[0:1], v51, s2, v[20:21]
	v_add_co_u32_e32 v22, vcc, v1, v22
	v_ashrrev_i32_e32 v25, 31, v24
	v_addc_co_u32_e32 v23, vcc, v3, v23, vcc
	v_lshlrev_b64 v[24:25], 2, v[24:25]
	v_add_co_u32_e32 v28, vcc, v1, v24
	v_or_b32_e32 v24, 0x80, v20
	v_addc_co_u32_e32 v29, vcc, v3, v25, vcc
	v_mul_lo_u16_e32 v25, 0xeb, v24
	v_lshrrev_b16_e32 v25, 13, v25
	v_add_u32_e32 v54, v51, v25
	v_mul_lo_u16_e32 v25, 35, v25
	v_sub_u16_e32 v24, v24, v25
	v_and_b32_e32 v24, 0xff, v24
	v_mad_u64_u32 v[26:27], s[0:1], v54, s2, v[24:25]
	v_ashrrev_i32_e32 v27, 31, v26
	v_lshlrev_b64 v[26:27], 2, v[26:27]
	v_or_b32_e32 v25, 0x80, v24
	v_add_co_u32_e32 v32, vcc, v1, v26
	v_mul_lo_u16_e32 v26, 0xeb, v25
	v_lshrrev_b16_e32 v26, 13, v26
	v_addc_co_u32_e32 v33, vcc, v3, v27, vcc
	v_add_u32_e32 v27, v54, v26
	v_mul_lo_u16_e32 v26, 35, v26
	v_sub_u16_e32 v25, v25, v26
	v_and_b32_e32 v26, 0xff, v25
	v_mad_u64_u32 v[30:31], s[0:1], v27, s2, v[26:27]
	v_ashrrev_i32_e32 v31, 31, v30
	v_lshlrev_b64 v[30:31], 2, v[30:31]
	v_or_b32_e32 v25, 0x80, v26
	v_add_co_u32_e32 v36, vcc, v1, v30
	v_mul_lo_u16_e32 v30, 0xeb, v25
	v_lshrrev_b16_e32 v30, 13, v30
	v_addc_co_u32_e32 v37, vcc, v3, v31, vcc
	;; [unrolled: 12-line block ×3, first 2 shown]
	v_add_u32_e32 v35, v31, v34
	v_mul_lo_u16_e32 v34, 35, v34
	v_sub_u16_e32 v25, v25, v34
	v_and_b32_e32 v34, 0xff, v25
	v_or_b32_e32 v25, 0x80, v34
	v_mul_lo_u16_e32 v42, 0xeb, v25
	v_lshrrev_b16_e32 v42, 13, v42
	v_add_u32_e32 v55, v35, v42
	v_mul_lo_u16_e32 v42, 35, v42
	v_sub_u16_e32 v25, v25, v42
	v_and_b32_e32 v42, 0xff, v25
	v_or_b32_e32 v25, 0x80, v42
	v_mul_lo_u16_e32 v46, 0xeb, v25
	v_lshrrev_b16_e32 v46, 13, v46
	v_mul_lo_u16_e32 v48, 35, v46
	v_sub_u16_e32 v25, v25, v48
	v_add_u32_e32 v56, v55, v46
	v_and_b32_e32 v46, 0xff, v25
	v_mad_u64_u32 v[40:41], s[0:1], v35, s2, v[34:35]
	v_or_b32_e32 v25, 0x80, v46
	v_ashrrev_i32_e32 v41, 31, v40
	v_mul_lo_u16_e32 v50, 0xeb, v25
	v_lshlrev_b64 v[40:41], 2, v[40:41]
	v_mad_u64_u32 v[44:45], s[0:1], v55, s2, v[42:43]
	v_lshrrev_b16_e32 v50, 13, v50
	v_add_co_u32_e32 v40, vcc, v1, v40
	v_ashrrev_i32_e32 v45, 31, v44
	v_mul_lo_u16_e32 v52, 35, v50
	v_addc_co_u32_e32 v41, vcc, v3, v41, vcc
	v_lshlrev_b64 v[44:45], 2, v[44:45]
	v_mad_u64_u32 v[48:49], s[0:1], v56, s2, v[46:47]
	v_sub_u16_e32 v25, v25, v52
	v_add_co_u32_e32 v44, vcc, v1, v44
	v_ashrrev_i32_e32 v49, 31, v48
	v_add_u32_e32 v57, v56, v50
	v_and_b32_e32 v50, 0xff, v25
	v_addc_co_u32_e32 v45, vcc, v3, v45, vcc
	v_lshlrev_b64 v[48:49], 2, v[48:49]
	v_mad_u64_u32 v[52:53], s[0:1], v57, s2, v[50:51]
	v_add_co_u32_e32 v48, vcc, v1, v48
	v_ashrrev_i32_e32 v53, 31, v52
	v_addc_co_u32_e32 v49, vcc, v3, v49, vcc
	v_lshlrev_b64 v[52:53], 2, v[52:53]
	v_add_co_u32_e32 v52, vcc, v1, v52
	v_addc_co_u32_e32 v53, vcc, v3, v53, vcc
	global_load_dword v25, v[10:11], off
	global_load_dword v58, v[14:15], off
	;; [unrolled: 1-line block ×7, first 2 shown]
                                        ; kill: killed $vgpr28 killed $vgpr29
                                        ; kill: killed $vgpr10 killed $vgpr11
                                        ; kill: killed $vgpr32 killed $vgpr33
                                        ; kill: killed $vgpr14 killed $vgpr15
                                        ; kill: killed $vgpr36 killed $vgpr37
                                        ; kill: killed $vgpr18 killed $vgpr19
                                        ; kill: killed $vgpr22 killed $vgpr23
	global_load_dword v14, v[38:39], off
	global_load_dword v15, v[40:41], off
	;; [unrolled: 1-line block ×5, first 2 shown]
	v_mad_u64_u32 v[10:11], s[0:1], v5, 35, v[2:3]
	v_lshl_add_u32 v2, v10, 2, 0
	v_mad_u64_u32 v[4:5], s[0:1], v7, 35, v[4:5]
	ds_write_b32 v2, v9
	v_lshl_add_u32 v2, v4, 2, 0
	v_mad_u64_u32 v[4:5], s[0:1], v17, 35, v[6:7]
	ds_write_b32 v2, v13
	v_lshl_add_u32 v2, v4, 2, 0
	v_mad_u64_u32 v[4:5], s[0:1], v21, 35, v[8:9]
	s_waitcnt vmcnt(11)
	ds_write_b32 v2, v25
	v_lshl_add_u32 v2, v4, 2, 0
	v_mad_u64_u32 v[4:5], s[0:1], v43, 35, v[12:13]
	s_waitcnt vmcnt(10)
	ds_write_b32 v2, v58
	v_lshl_add_u32 v2, v4, 2, 0
	v_mad_u64_u32 v[4:5], s[0:1], v47, 35, v[16:17]
	s_waitcnt vmcnt(9)
	ds_write_b32 v2, v59
	v_lshl_add_u32 v2, v4, 2, 0
	v_mad_u64_u32 v[4:5], s[0:1], v51, 35, v[20:21]
	s_waitcnt vmcnt(8)
	ds_write_b32 v2, v60
	v_lshl_add_u32 v2, v4, 2, 0
	v_mad_u64_u32 v[4:5], s[0:1], v54, 35, v[24:25]
	s_waitcnt vmcnt(7)
	ds_write_b32 v2, v61
	v_lshl_add_u32 v2, v4, 2, 0
	v_mad_u64_u32 v[4:5], s[0:1], v27, 35, v[26:27]
	s_waitcnt vmcnt(6)
	ds_write_b32 v2, v62
	v_lshl_add_u32 v2, v4, 2, 0
	v_mad_u64_u32 v[4:5], s[0:1], v31, 35, v[30:31]
	s_waitcnt vmcnt(5)
	ds_write_b32 v2, v63
	v_lshl_add_u32 v2, v4, 2, 0
	v_mad_u64_u32 v[4:5], s[0:1], v35, 35, v[34:35]
	s_waitcnt vmcnt(4)
	ds_write_b32 v2, v14
	v_lshl_add_u32 v2, v4, 2, 0
	v_mad_u64_u32 v[4:5], s[0:1], v55, 35, v[42:43]
	s_waitcnt vmcnt(3)
	ds_write_b32 v2, v15
	v_lshl_add_u32 v2, v4, 2, 0
	v_mad_u64_u32 v[4:5], s[0:1], v56, 35, v[46:47]
	s_waitcnt vmcnt(2)
	ds_write_b32 v2, v18
	v_lshl_add_u32 v2, v4, 2, 0
	v_mad_u64_u32 v[4:5], s[0:1], v57, 35, v[50:51]
	s_waitcnt vmcnt(1)
	ds_write_b32 v2, v19
	v_lshl_add_u32 v2, v4, 2, 0
	s_waitcnt vmcnt(0)
	ds_write_b32 v2, v22
	v_or_b32_e32 v2, 0x80, v50
	v_mul_lo_u16_e32 v4, 0xeb, v2
	v_lshrrev_b16_e32 v5, 13, v4
	v_add_u32_e32 v4, v57, v5
	v_mul_lo_u16_e32 v5, 35, v5
	v_sub_u16_e32 v2, v2, v5
	v_and_b32_e32 v2, 0xff, v2
	v_cmp_gt_u32_e32 vcc, s7, v4
	s_and_saveexec_b64 s[0:1], vcc
	s_cbranch_execz .LBB3_2
; %bb.1:
	v_mad_u64_u32 v[6:7], s[8:9], v4, s2, v[2:3]
	v_ashrrev_i32_e32 v7, 31, v6
	v_lshlrev_b64 v[6:7], 2, v[6:7]
	v_add_co_u32_e32 v6, vcc, v1, v6
	v_addc_co_u32_e32 v7, vcc, v3, v7, vcc
	global_load_dword v5, v[6:7], off
	v_mad_u64_u32 v[6:7], s[8:9], v4, 35, v[2:3]
	v_lshl_add_u32 v6, v6, 2, 0
	s_waitcnt vmcnt(0)
	ds_write_b32 v6, v5
.LBB3_2:
	s_or_b64 exec, exec, s[0:1]
	v_or_b32_e32 v2, 0x80, v2
	v_mul_lo_u16_e32 v5, 0xeb, v2
	v_lshrrev_b16_e32 v5, 13, v5
	v_add_u32_e32 v4, v4, v5
	v_mul_lo_u16_e32 v5, 35, v5
	v_sub_u16_e32 v2, v2, v5
	v_and_b32_e32 v2, 0xff, v2
	v_cmp_gt_u32_e32 vcc, s7, v4
	s_and_saveexec_b64 s[0:1], vcc
	s_cbranch_execz .LBB3_4
; %bb.3:
	v_mad_u64_u32 v[6:7], s[8:9], v4, s2, v[2:3]
	v_ashrrev_i32_e32 v7, 31, v6
	v_lshlrev_b64 v[6:7], 2, v[6:7]
	v_add_co_u32_e32 v6, vcc, v1, v6
	v_addc_co_u32_e32 v7, vcc, v3, v7, vcc
	global_load_dword v5, v[6:7], off
	v_mad_u64_u32 v[6:7], s[8:9], v4, 35, v[2:3]
	v_lshl_add_u32 v6, v6, 2, 0
	s_waitcnt vmcnt(0)
	ds_write_b32 v6, v5
.LBB3_4:
	s_or_b64 exec, exec, s[0:1]
	v_or_b32_e32 v2, 0x80, v2
	v_mul_lo_u16_e32 v5, 0xeb, v2
	v_lshrrev_b16_e32 v5, 13, v5
	v_add_u32_e32 v4, v4, v5
	v_mul_lo_u16_e32 v5, 35, v5
	v_sub_u16_e32 v2, v2, v5
	v_and_b32_e32 v2, 0xff, v2
	v_cmp_gt_u32_e32 vcc, s7, v4
	s_and_saveexec_b64 s[0:1], vcc
	s_cbranch_execz .LBB3_6
; %bb.5:
	v_mad_u64_u32 v[6:7], s[8:9], v4, s2, v[2:3]
	v_ashrrev_i32_e32 v7, 31, v6
	v_lshlrev_b64 v[6:7], 2, v[6:7]
	v_add_co_u32_e32 v6, vcc, v1, v6
	v_addc_co_u32_e32 v7, vcc, v3, v7, vcc
	global_load_dword v5, v[6:7], off
	v_mad_u64_u32 v[6:7], s[8:9], v4, 35, v[2:3]
	v_lshl_add_u32 v6, v6, 2, 0
	s_waitcnt vmcnt(0)
	ds_write_b32 v6, v5
.LBB3_6:
	s_or_b64 exec, exec, s[0:1]
	v_or_b32_e32 v2, 0x80, v2
	v_mul_lo_u16_e32 v5, 0xeb, v2
	v_lshrrev_b16_e32 v5, 13, v5
	v_add_u32_e32 v4, v4, v5
	v_mul_lo_u16_e32 v5, 35, v5
	v_sub_u16_e32 v2, v2, v5
	v_and_b32_e32 v2, 0xff, v2
	v_cmp_gt_u32_e32 vcc, s7, v4
	s_and_saveexec_b64 s[0:1], vcc
	s_cbranch_execz .LBB3_8
; %bb.7:
	v_mad_u64_u32 v[6:7], s[8:9], v4, s2, v[2:3]
	v_ashrrev_i32_e32 v7, 31, v6
	v_lshlrev_b64 v[6:7], 2, v[6:7]
	v_add_co_u32_e32 v6, vcc, v1, v6
	v_addc_co_u32_e32 v7, vcc, v3, v7, vcc
	global_load_dword v5, v[6:7], off
	v_mad_u64_u32 v[6:7], s[8:9], v4, 35, v[2:3]
	v_lshl_add_u32 v6, v6, 2, 0
	s_waitcnt vmcnt(0)
	ds_write_b32 v6, v5
.LBB3_8:
	s_or_b64 exec, exec, s[0:1]
	v_or_b32_e32 v2, 0x80, v2
	v_mul_lo_u16_e32 v5, 0xeb, v2
	v_lshrrev_b16_e32 v5, 13, v5
	v_add_u32_e32 v4, v4, v5
	v_mul_lo_u16_e32 v5, 35, v5
	v_sub_u16_e32 v2, v2, v5
	v_and_b32_e32 v2, 0xff, v2
	v_cmp_gt_u32_e32 vcc, s7, v4
	s_and_saveexec_b64 s[0:1], vcc
	s_cbranch_execz .LBB3_10
; %bb.9:
	v_mad_u64_u32 v[6:7], s[8:9], v4, s2, v[2:3]
	v_ashrrev_i32_e32 v7, 31, v6
	v_lshlrev_b64 v[6:7], 2, v[6:7]
	v_add_co_u32_e32 v6, vcc, v1, v6
	v_addc_co_u32_e32 v7, vcc, v3, v7, vcc
	global_load_dword v5, v[6:7], off
	v_mad_u64_u32 v[6:7], s[8:9], v4, 35, v[2:3]
	v_lshl_add_u32 v6, v6, 2, 0
	s_waitcnt vmcnt(0)
	ds_write_b32 v6, v5
.LBB3_10:
	s_or_b64 exec, exec, s[0:1]
	v_or_b32_e32 v2, 0x80, v2
	v_mul_lo_u16_e32 v5, 0xeb, v2
	v_lshrrev_b16_e32 v5, 13, v5
	v_add_u32_e32 v4, v4, v5
	v_mul_lo_u16_e32 v5, 35, v5
	v_sub_u16_e32 v2, v2, v5
	v_and_b32_e32 v2, 0xff, v2
	v_cmp_gt_u32_e32 vcc, s7, v4
	s_and_saveexec_b64 s[0:1], vcc
	s_cbranch_execz .LBB3_12
; %bb.11:
	v_mad_u64_u32 v[6:7], s[8:9], v4, s2, v[2:3]
	v_ashrrev_i32_e32 v7, 31, v6
	v_lshlrev_b64 v[6:7], 2, v[6:7]
	v_add_co_u32_e32 v6, vcc, v1, v6
	v_addc_co_u32_e32 v7, vcc, v3, v7, vcc
	global_load_dword v5, v[6:7], off
	v_mad_u64_u32 v[6:7], s[8:9], v4, 35, v[2:3]
	v_lshl_add_u32 v6, v6, 2, 0
	s_waitcnt vmcnt(0)
	ds_write_b32 v6, v5
.LBB3_12:
	s_or_b64 exec, exec, s[0:1]
	v_or_b32_e32 v2, 0x80, v2
	v_mul_lo_u16_e32 v5, 0xeb, v2
	v_lshrrev_b16_e32 v5, 13, v5
	v_add_u32_e32 v4, v4, v5
	v_mul_lo_u16_e32 v5, 35, v5
	v_sub_u16_e32 v2, v2, v5
	v_and_b32_e32 v2, 0xff, v2
	v_cmp_gt_u32_e32 vcc, s7, v4
	s_and_saveexec_b64 s[0:1], vcc
	s_cbranch_execz .LBB3_14
; %bb.13:
	v_mad_u64_u32 v[6:7], s[8:9], v4, s2, v[2:3]
	v_ashrrev_i32_e32 v7, 31, v6
	v_lshlrev_b64 v[6:7], 2, v[6:7]
	v_add_co_u32_e32 v6, vcc, v1, v6
	v_addc_co_u32_e32 v7, vcc, v3, v7, vcc
	global_load_dword v5, v[6:7], off
	v_mad_u64_u32 v[6:7], s[8:9], v4, 35, v[2:3]
	v_lshl_add_u32 v6, v6, 2, 0
	s_waitcnt vmcnt(0)
	ds_write_b32 v6, v5
.LBB3_14:
	s_or_b64 exec, exec, s[0:1]
	v_or_b32_e32 v2, 0x80, v2
	v_mul_lo_u16_e32 v5, 0xeb, v2
	v_lshrrev_b16_e32 v5, 13, v5
	v_add_u32_e32 v4, v4, v5
	v_mul_lo_u16_e32 v5, 35, v5
	v_sub_u16_e32 v2, v2, v5
	v_and_b32_e32 v2, 0xff, v2
	v_cmp_gt_u32_e32 vcc, s7, v4
	s_and_saveexec_b64 s[0:1], vcc
	s_cbranch_execz .LBB3_16
; %bb.15:
	v_mad_u64_u32 v[6:7], s[8:9], v4, s2, v[2:3]
	v_ashrrev_i32_e32 v7, 31, v6
	v_lshlrev_b64 v[6:7], 2, v[6:7]
	v_add_co_u32_e32 v6, vcc, v1, v6
	v_addc_co_u32_e32 v7, vcc, v3, v7, vcc
	global_load_dword v5, v[6:7], off
	v_mad_u64_u32 v[6:7], s[8:9], v4, 35, v[2:3]
	v_lshl_add_u32 v6, v6, 2, 0
	s_waitcnt vmcnt(0)
	ds_write_b32 v6, v5
.LBB3_16:
	s_or_b64 exec, exec, s[0:1]
	s_load_dwordx4 s[8:11], s[4:5], 0x8
	s_load_dwordx2 s[16:17], s[4:5], 0x28
	s_movk_i32 s0, 0x380
	v_cmp_gt_u32_e32 vcc, s0, v0
	s_and_saveexec_b64 s[0:1], vcc
	s_cbranch_execz .LBB3_37
; %bb.17:
	v_or_b32_e32 v2, 0x80, v2
	v_mul_lo_u16_e32 v5, 0xeb, v2
	v_lshrrev_b16_e32 v5, 13, v5
	v_add_u32_e32 v4, v4, v5
	v_mul_lo_u16_e32 v5, 35, v5
	v_sub_u16_e32 v2, v2, v5
	v_and_b32_e32 v2, 0xff, v2
	v_cmp_gt_u32_e32 vcc, s7, v4
	s_and_saveexec_b64 s[18:19], vcc
	s_cbranch_execz .LBB3_19
; %bb.18:
	v_mad_u64_u32 v[6:7], s[20:21], v4, s2, v[2:3]
	v_ashrrev_i32_e32 v7, 31, v6
	v_lshlrev_b64 v[6:7], 2, v[6:7]
	v_add_co_u32_e32 v6, vcc, v1, v6
	v_addc_co_u32_e32 v7, vcc, v3, v7, vcc
	global_load_dword v5, v[6:7], off
	v_mad_u64_u32 v[6:7], s[20:21], v4, 35, v[2:3]
	v_lshl_add_u32 v6, v6, 2, 0
	s_waitcnt vmcnt(0)
	ds_write_b32 v6, v5
.LBB3_19:
	s_or_b64 exec, exec, s[18:19]
	s_movk_i32 s7, 0x300
	v_cmp_gt_u32_e32 vcc, s7, v0
	s_and_b64 exec, exec, vcc
	s_cbranch_execz .LBB3_37
; %bb.20:
	v_or_b32_e32 v2, 0x80, v2
	v_mul_lo_u16_e32 v5, 0xeb, v2
	v_lshrrev_b16_e32 v5, 13, v5
	v_add_u32_e32 v4, v4, v5
	v_mul_lo_u16_e32 v5, 35, v5
	s_movk_i32 s7, 0x80
	v_sub_u16_e32 v2, v2, v5
	v_and_b32_e32 v2, 0xff, v2
	v_cmp_gt_u32_e32 vcc, s7, v4
	s_and_saveexec_b64 s[18:19], vcc
	s_cbranch_execz .LBB3_22
; %bb.21:
	v_mad_u64_u32 v[6:7], s[20:21], v4, s2, v[2:3]
	v_ashrrev_i32_e32 v7, 31, v6
	v_lshlrev_b64 v[6:7], 2, v[6:7]
	v_add_co_u32_e32 v6, vcc, v1, v6
	v_addc_co_u32_e32 v7, vcc, v3, v7, vcc
	global_load_dword v5, v[6:7], off
	v_mad_u64_u32 v[6:7], s[20:21], v4, 35, v[2:3]
	v_lshl_add_u32 v6, v6, 2, 0
	s_waitcnt vmcnt(0)
	ds_write_b32 v6, v5
.LBB3_22:
	s_or_b64 exec, exec, s[18:19]
	s_movk_i32 s7, 0x280
	v_cmp_gt_u32_e32 vcc, s7, v0
	s_and_b64 exec, exec, vcc
	s_cbranch_execz .LBB3_37
; %bb.23:
	v_or_b32_e32 v2, 0x80, v2
	v_mul_lo_u16_e32 v5, 0xeb, v2
	v_lshrrev_b16_e32 v5, 13, v5
	v_add_u32_e32 v4, v4, v5
	v_mul_lo_u16_e32 v5, 35, v5
	s_movk_i32 s7, 0x80
	;; [unrolled: 29-line block ×5, first 2 shown]
	v_sub_u16_e32 v2, v2, v5
	v_and_b32_e32 v2, 0xff, v2
	v_cmp_gt_u32_e32 vcc, s7, v4
	s_and_saveexec_b64 s[18:19], vcc
	s_cbranch_execz .LBB3_34
; %bb.33:
	v_mad_u64_u32 v[6:7], s[20:21], v4, s2, v[2:3]
	v_ashrrev_i32_e32 v7, 31, v6
	v_lshlrev_b64 v[6:7], 2, v[6:7]
	v_add_co_u32_e32 v6, vcc, v1, v6
	v_addc_co_u32_e32 v7, vcc, v3, v7, vcc
	global_load_dword v5, v[6:7], off
	v_mad_u64_u32 v[6:7], s[20:21], v4, 35, v[2:3]
	v_lshl_add_u32 v6, v6, 2, 0
	s_waitcnt vmcnt(0)
	ds_write_b32 v6, v5
.LBB3_34:
	s_or_b64 exec, exec, s[18:19]
	v_cmp_gt_u32_e32 vcc, s7, v0
	s_and_b64 exec, exec, vcc
	s_cbranch_execz .LBB3_37
; %bb.35:
	v_or_b32_e32 v5, 0x80, v2
	v_mul_lo_u16_e32 v2, 0xeb, v5
	v_lshrrev_b16_e32 v6, 13, v2
	v_add_u32_e32 v2, v4, v6
	v_cmp_gt_u32_e32 vcc, s7, v2
	s_and_b64 exec, exec, vcc
	s_cbranch_execz .LBB3_37
; %bb.36:
	v_mul_lo_u16_e32 v4, 35, v6
	v_sub_u16_e32 v4, v5, v4
	v_and_b32_e32 v4, 0xff, v4
	v_mad_u64_u32 v[6:7], s[18:19], v2, s2, v[4:5]
	v_ashrrev_i32_e32 v7, 31, v6
	v_lshlrev_b64 v[6:7], 2, v[6:7]
	v_add_co_u32_e32 v6, vcc, v1, v6
	v_addc_co_u32_e32 v7, vcc, v3, v7, vcc
	global_load_dword v1, v[6:7], off
	v_mad_u64_u32 v[2:3], s[18:19], v2, 35, v[4:5]
	v_lshl_add_u32 v2, v2, 2, 0
	s_waitcnt vmcnt(0)
	ds_write_b32 v2, v1
.LBB3_37:
	s_or_b64 exec, exec, s[0:1]
	s_ashr_i32 s0, s3, 31
	s_mul_hi_u32 s1, s12, s3
	s_mul_i32 s0, s12, s0
	s_add_i32 s0, s1, s0
	s_mul_i32 s1, s13, s3
	s_add_i32 s0, s0, s1
	s_mul_i32 s1, s12, s3
	s_waitcnt lgkmcnt(0)
	s_add_u32 s1, s8, s1
	s_addc_u32 s0, s9, s0
	s_ashr_i32 s2, s3, 2
	v_mul_lo_u32 v2, s2, v0
	v_ashrrev_i32_e32 v3, 31, v2
	v_lshlrev_b64 v[2:3], 2, v[2:3]
	v_mov_b32_e32 v1, s0
	v_add_co_u32_e32 v2, vcc, s1, v2
	v_addc_co_u32_e32 v3, vcc, v1, v3, vcc
	s_barrier
	global_load_dwordx4 v[2:5], v[2:3], off
	s_cmp_eq_u64 s[10:11], 0
	v_lshlrev_b32_e32 v18, 2, v0
	s_cbranch_scc1 .LBB3_39
; %bb.38:
	s_lshl_b64 s[0:1], s[12:13], 2
	s_add_u32 s0, s10, s0
	s_addc_u32 s1, s11, s1
	global_load_dword v6, v18, s[0:1]
	s_branch .LBB3_40
.LBB3_39:
	v_mov_b32_e32 v6, 0
.LBB3_40:
	s_load_dwordx2 s[0:1], s[4:5], 0x40
	s_waitcnt lgkmcnt(0)
	s_sub_u32 s0, s0, s14
	s_subb_u32 s1, s1, s15
	v_cmp_lt_i64_e64 s[2:3], s[0:1], 1
	s_and_b64 vcc, exec, s[2:3]
	s_cbranch_vccnz .LBB3_48
; %bb.41:
	s_load_dwordx4 s[8:11], s[4:5], 0x30
	s_mov_b32 s5, 0
	v_mul_u32_u24_e32 v19, 35, v0
	s_waitcnt lgkmcnt(0)
	s_ashr_i32 s2, s9, 31
	s_mul_hi_u32 s3, s14, s9
	s_mul_i32 s2, s14, s2
	s_mul_i32 s4, s15, s9
	s_add_i32 s15, s3, s2
	s_ashr_i32 s2, s8, 31
	s_mul_hi_u32 s3, s12, s8
	s_mul_i32 s2, s12, s2
	s_mul_i32 s10, s6, s10
	s_add_i32 s2, s3, s2
	s_mul_i32 s3, s13, s8
	s_ashr_i32 s11, s10, 31
	s_add_i32 s15, s15, s4
	s_add_i32 s13, s2, s3
	s_ashr_i32 s2, s9, 2
	v_cmp_lt_i64_e64 s[6:7], s[0:1], 32
	s_and_b64 s[6:7], s[6:7], exec
	s_cselect_b32 s7, s1, 0
	s_cselect_b32 s6, s0, 32
	s_mul_i32 s14, s14, s9
	s_mul_i32 s12, s12, s8
	v_cmp_gt_i64_e64 s[8:9], s[6:7], 1
	s_and_b64 s[8:9], s[8:9], exec
	s_cselect_b32 s7, s7, 0
	s_cselect_b32 s6, s6, 1
	s_cmp_eq_u64 s[0:1], 1
	s_cselect_b64 s[0:1], -1, 0
	s_cmp_lg_u32 s2, 1
	s_cselect_b64 s[8:9], -1, 0
	s_or_b64 s[0:1], s[0:1], s[8:9]
	s_and_b64 vcc, exec, s[0:1]
	s_cbranch_vccnz .LBB3_45
; %bb.42:
	s_add_u32 s0, s16, s10
	s_addc_u32 s1, s17, s11
	s_add_u32 s0, s0, s14
	v_lshl_add_u32 v21, v19, 2, 0
	s_addc_u32 s1, s1, s15
	ds_read2_b32 v[16:17], v21 offset1:1
	s_add_u32 s0, s0, s12
	s_addc_u32 s1, s1, s13
	v_mov_b32_e32 v1, s1
	v_add_co_u32_e32 v0, vcc, s0, v18
	s_and_b32 s4, s6, 62
	v_addc_co_u32_e32 v1, vcc, 0, v1, vcc
	s_waitcnt vmcnt(0)
	v_mov_b32_e32 v8, v2
	v_mov_b32_e32 v9, v2
	;; [unrolled: 1-line block ×9, first 2 shown]
	s_mov_b32 s3, 0xbfb8aa3b
	s_mov_b32 s18, 0x42ce8ed0
	;; [unrolled: 1-line block ×3, first 2 shown]
	v_mov_b32_e32 v20, 0x7f800000
	s_mov_b64 s[8:9], s[4:5]
.LBB3_43:                               ; =>This Inner Loop Header: Depth=1
	s_waitcnt lgkmcnt(0)
	v_pk_fma_f32 v[22:23], v[8:9], v[16:17], 0 op_sel_hi:[1,1,0]
	ds_read2_b32 v[24:25], v21 offset0:1 offset1:2
	ds_read2_b32 v[16:17], v21 offset0:2 offset1:3
	;; [unrolled: 1-line block ×3, first 2 shown]
	v_add_u32_e32 v28, 8, v21
	v_mov_b32_e32 v21, v28
	s_waitcnt lgkmcnt(2)
	v_pk_fma_f32 v[22:23], v[10:11], v[24:25], v[22:23]
	s_waitcnt lgkmcnt(1)
	v_pk_fma_f32 v[22:23], v[12:13], v[16:17], v[22:23]
	;; [unrolled: 2-line block ×3, first 2 shown]
	v_pk_add_f32 v[22:23], v[6:7], v[22:23]
	v_mul_f32_e32 v24, 0xbfb8aa3b, v23
	v_mul_f32_e32 v25, 0xbfb8aa3b, v22
	v_fma_f32 v26, v23, s3, -v24
	v_rndne_f32_e32 v27, v24
	v_fma_f32 v28, v22, s3, -v25
	v_rndne_f32_e32 v29, v25
	v_fmac_f32_e32 v26, 0xb2a5705f, v23
	v_sub_f32_e32 v24, v24, v27
	v_fmac_f32_e32 v28, 0xb2a5705f, v22
	v_sub_f32_e32 v25, v25, v29
	v_add_f32_e32 v24, v24, v26
	v_add_f32_e32 v25, v25, v28
	v_cvt_i32_f32_e32 v27, v27
	v_cvt_i32_f32_e32 v29, v29
	v_exp_f32_e32 v24, v24
	v_exp_f32_e32 v25, v25
	v_cmp_nlt_f32_e32 vcc, s18, v22
	v_cmp_nlt_f32_e64 s[0:1], s18, v23
	v_ldexp_f32 v24, v24, v27
	v_ldexp_f32 v25, v25, v29
	v_cndmask_b32_e64 v24, 0, v24, s[0:1]
	v_cndmask_b32_e32 v26, 0, v25, vcc
	v_cmp_ngt_f32_e32 vcc, s19, v22
	v_cmp_ngt_f32_e64 s[0:1], s19, v23
	v_cndmask_b32_e64 v25, v20, v24, s[0:1]
	v_cndmask_b32_e32 v24, v20, v26, vcc
	v_pk_add_f32 v[24:25], v[24:25], 1.0 op_sel_hi:[1,0]
	v_div_scale_f32 v26, s[0:1], v25, v25, v23
	v_div_scale_f32 v28, s[0:1], v24, v24, v22
	v_rcp_f32_e32 v30, v26
	v_rcp_f32_e32 v31, v28
	v_div_scale_f32 v27, vcc, v23, v25, v23
	v_fma_f32 v32, -v26, v30, 1.0
	v_fma_f32 v33, -v28, v31, 1.0
	v_fmac_f32_e32 v30, v32, v30
	v_div_scale_f32 v29, s[0:1], v22, v24, v22
	v_fmac_f32_e32 v31, v33, v31
	v_mul_f32_e32 v32, v27, v30
	v_mul_f32_e32 v33, v29, v31
	v_fma_f32 v34, -v26, v32, v27
	v_fma_f32 v35, -v28, v33, v29
	v_fmac_f32_e32 v32, v34, v30
	v_fmac_f32_e32 v33, v35, v31
	v_fma_f32 v26, -v26, v32, v27
	v_fma_f32 v27, -v28, v33, v29
	v_div_fmas_f32 v26, v26, v30, v32
	s_mov_b64 vcc, s[0:1]
	v_div_fixup_f32 v23, v26, v25, v23
	v_div_fmas_f32 v25, v27, v31, v33
	s_add_u32 s8, s8, -2
	v_div_fixup_f32 v22, v25, v24, v22
	s_addc_u32 s9, s9, -1
	global_store_dwordx2 v[0:1], v[22:23], off
	v_add_co_u32_e32 v0, vcc, 8, v0
	s_cmp_lg_u64 s[8:9], 0
	v_addc_co_u32_e32 v1, vcc, 0, v1, vcc
	s_cbranch_scc1 .LBB3_43
; %bb.44:
	s_cmp_lg_u64 s[6:7], s[4:5]
	s_cselect_b64 s[0:1], -1, 0
	s_and_b64 vcc, exec, s[0:1]
	s_cbranch_vccnz .LBB3_46
	s_branch .LBB3_48
.LBB3_45:
	s_mov_b64 s[4:5], 0
	s_cbranch_execz .LBB3_48
.LBB3_46:
	s_ashr_i32 s3, s2, 31
	s_sub_u32 s6, s4, s6
	s_subb_u32 s7, s5, s7
	s_add_u32 s5, s12, s14
	s_mul_hi_i32 s1, s4, s2
	s_mul_i32 s0, s4, s2
	s_addc_u32 s8, s13, s15
	s_lshl_b64 s[0:1], s[0:1], 2
	s_add_u32 s0, s5, s0
	s_addc_u32 s1, s8, s1
	s_add_u32 s5, s16, s10
	s_addc_u32 s8, s17, s11
	;; [unrolled: 2-line block ×3, first 2 shown]
	v_mov_b32_e32 v1, s1
	v_add_co_u32_e32 v0, vcc, s0, v18
	s_lshl_b64 s[2:3], s[2:3], 2
	v_add_u32_e32 v7, s4, v19
	v_addc_co_u32_e32 v1, vcc, 0, v1, vcc
	v_lshl_add_u32 v7, v7, 2, 0
	s_mov_b32 s4, 0xbfb8aa3b
	s_mov_b32 s5, 0x42ce8ed0
	;; [unrolled: 1-line block ×3, first 2 shown]
	v_mov_b32_e32 v8, 0x7f800000
	v_mov_b32_e32 v9, s3
	s_waitcnt vmcnt(0)
.LBB3_47:                               ; =>This Inner Loop Header: Depth=1
	ds_read2_b32 v[10:11], v7 offset1:1
	ds_read2_b32 v[12:13], v7 offset0:2 offset1:3
	s_add_u32 s6, s6, 1
	s_addc_u32 s7, s7, 0
	s_cmp_eq_u64 s[6:7], 0
	s_waitcnt lgkmcnt(1)
	v_pk_mul_f32 v[10:11], v[2:3], v[10:11]
	v_add_f32_e32 v10, 0, v10
	s_waitcnt lgkmcnt(0)
	v_pk_mul_f32 v[12:13], v[4:5], v[12:13]
	v_add_f32_e32 v10, v10, v11
	v_add_f32_e32 v10, v10, v12
	;; [unrolled: 1-line block ×4, first 2 shown]
	v_mul_f32_e32 v11, 0xbfb8aa3b, v10
	v_fma_f32 v12, v10, s4, -v11
	v_rndne_f32_e32 v13, v11
	v_fmac_f32_e32 v12, 0xb2a5705f, v10
	v_sub_f32_e32 v11, v11, v13
	v_add_f32_e32 v11, v11, v12
	v_cvt_i32_f32_e32 v13, v13
	v_exp_f32_e32 v11, v11
	v_cmp_nlt_f32_e32 vcc, s5, v10
	s_cselect_b64 s[0:1], -1, 0
	v_add_u32_e32 v7, 4, v7
	v_ldexp_f32 v11, v11, v13
	v_cndmask_b32_e32 v11, 0, v11, vcc
	v_cmp_ngt_f32_e32 vcc, s8, v10
	v_cndmask_b32_e32 v11, v8, v11, vcc
	v_add_f32_e32 v11, 1.0, v11
	v_div_scale_f32 v12, s[10:11], v11, v11, v10
	v_rcp_f32_e32 v14, v12
	v_div_scale_f32 v13, vcc, v10, v11, v10
	v_fma_f32 v15, -v12, v14, 1.0
	v_fmac_f32_e32 v14, v15, v14
	v_mul_f32_e32 v15, v13, v14
	v_fma_f32 v16, -v12, v15, v13
	v_fmac_f32_e32 v15, v16, v14
	v_fma_f32 v12, -v12, v15, v13
	v_div_fmas_f32 v12, v12, v14, v15
	v_div_fixup_f32 v10, v12, v11, v10
	s_andn2_b64 vcc, exec, s[0:1]
	global_store_dword v[0:1], v10, off
	v_add_co_u32_e64 v0, s[0:1], s2, v0
	v_addc_co_u32_e64 v1, s[0:1], v1, v9, s[0:1]
	s_cbranch_vccnz .LBB3_47
.LBB3_48:
	s_endpgm
	.section	.rodata,"a",@progbits
	.p2align	6, 0x0
	.amdhsa_kernel _ZL23ssm_conv_long_token_f32ILb1ELm128ELm4ELl32EEvPKfS1_S1_iiiiPfiiil
		.amdhsa_group_segment_fixed_size 0
		.amdhsa_private_segment_fixed_size 0
		.amdhsa_kernarg_size 72
		.amdhsa_user_sgpr_count 6
		.amdhsa_user_sgpr_private_segment_buffer 1
		.amdhsa_user_sgpr_dispatch_ptr 0
		.amdhsa_user_sgpr_queue_ptr 0
		.amdhsa_user_sgpr_kernarg_segment_ptr 1
		.amdhsa_user_sgpr_dispatch_id 0
		.amdhsa_user_sgpr_flat_scratch_init 0
		.amdhsa_user_sgpr_kernarg_preload_length 0
		.amdhsa_user_sgpr_kernarg_preload_offset 0
		.amdhsa_user_sgpr_private_segment_size 0
		.amdhsa_uses_dynamic_stack 0
		.amdhsa_system_sgpr_private_segment_wavefront_offset 0
		.amdhsa_system_sgpr_workgroup_id_x 1
		.amdhsa_system_sgpr_workgroup_id_y 1
		.amdhsa_system_sgpr_workgroup_id_z 1
		.amdhsa_system_sgpr_workgroup_info 0
		.amdhsa_system_vgpr_workitem_id 0
		.amdhsa_next_free_vgpr 64
		.amdhsa_next_free_sgpr 22
		.amdhsa_accum_offset 64
		.amdhsa_reserve_vcc 1
		.amdhsa_reserve_flat_scratch 0
		.amdhsa_float_round_mode_32 0
		.amdhsa_float_round_mode_16_64 0
		.amdhsa_float_denorm_mode_32 3
		.amdhsa_float_denorm_mode_16_64 3
		.amdhsa_dx10_clamp 1
		.amdhsa_ieee_mode 1
		.amdhsa_fp16_overflow 0
		.amdhsa_tg_split 0
		.amdhsa_exception_fp_ieee_invalid_op 0
		.amdhsa_exception_fp_denorm_src 0
		.amdhsa_exception_fp_ieee_div_zero 0
		.amdhsa_exception_fp_ieee_overflow 0
		.amdhsa_exception_fp_ieee_underflow 0
		.amdhsa_exception_fp_ieee_inexact 0
		.amdhsa_exception_int_div_zero 0
	.end_amdhsa_kernel
	.section	.text._ZL23ssm_conv_long_token_f32ILb1ELm128ELm4ELl32EEvPKfS1_S1_iiiiPfiiil,"axG",@progbits,_ZL23ssm_conv_long_token_f32ILb1ELm128ELm4ELl32EEvPKfS1_S1_iiiiPfiiil,comdat
.Lfunc_end3:
	.size	_ZL23ssm_conv_long_token_f32ILb1ELm128ELm4ELl32EEvPKfS1_S1_iiiiPfiiil, .Lfunc_end3-_ZL23ssm_conv_long_token_f32ILb1ELm128ELm4ELl32EEvPKfS1_S1_iiiiPfiiil
                                        ; -- End function
	.section	.AMDGPU.csdata,"",@progbits
; Kernel info:
; codeLenInByte = 5472
; NumSgprs: 26
; NumVgprs: 64
; NumAgprs: 0
; TotalNumVgprs: 64
; ScratchSize: 0
; MemoryBound: 0
; FloatMode: 240
; IeeeMode: 1
; LDSByteSize: 0 bytes/workgroup (compile time only)
; SGPRBlocks: 3
; VGPRBlocks: 7
; NumSGPRsForWavesPerEU: 26
; NumVGPRsForWavesPerEU: 64
; AccumOffset: 64
; Occupancy: 8
; WaveLimiterHint : 0
; COMPUTE_PGM_RSRC2:SCRATCH_EN: 0
; COMPUTE_PGM_RSRC2:USER_SGPR: 6
; COMPUTE_PGM_RSRC2:TRAP_HANDLER: 0
; COMPUTE_PGM_RSRC2:TGID_X_EN: 1
; COMPUTE_PGM_RSRC2:TGID_Y_EN: 1
; COMPUTE_PGM_RSRC2:TGID_Z_EN: 1
; COMPUTE_PGM_RSRC2:TIDIG_COMP_CNT: 0
; COMPUTE_PGM_RSRC3_GFX90A:ACCUM_OFFSET: 15
; COMPUTE_PGM_RSRC3_GFX90A:TG_SPLIT: 0
	.section	.text._ZL12ssm_conv_f32ILb1ELm128ELm5EEvPKfS1_S1_iiiiPfiiil,"axG",@progbits,_ZL12ssm_conv_f32ILb1ELm128ELm5EEvPKfS1_S1_iiiiPfiiil,comdat
	.globl	_ZL12ssm_conv_f32ILb1ELm128ELm5EEvPKfS1_S1_iiiiPfiiil ; -- Begin function _ZL12ssm_conv_f32ILb1ELm128ELm5EEvPKfS1_S1_iiiiPfiiil
	.p2align	8
	.type	_ZL12ssm_conv_f32ILb1ELm128ELm5EEvPKfS1_S1_iiiiPfiiil,@function
_ZL12ssm_conv_f32ILb1ELm128ELm5EEvPKfS1_S1_iiiiPfiiil: ; @_ZL12ssm_conv_f32ILb1ELm128ELm5EEvPKfS1_S1_iiiiPfiiil
; %bb.0:
	s_load_dwordx2 s[0:1], s[4:5], 0x10
	s_mov_b32 s8, s7
	s_ashr_i32 s9, s7, 31
	s_lshl_b64 s[18:19], s[8:9], 7
	v_lshlrev_b32_e32 v12, 2, v0
	s_waitcnt lgkmcnt(0)
	s_cmp_eq_u64 s[0:1], 0
	s_cbranch_scc1 .LBB4_2
; %bb.1:
	s_lshl_b64 s[2:3], s[18:19], 2
	s_add_u32 s0, s0, s2
	s_addc_u32 s1, s1, s3
	global_load_dword v5, v12, s[0:1]
	s_load_dwordx2 s[16:17], s[4:5], 0x40
	s_waitcnt lgkmcnt(0)
	v_cmp_lt_i64_e64 s[0:1], s[16:17], 1
	s_and_b64 vcc, exec, s[0:1]
	s_cbranch_vccz .LBB4_3
	s_branch .LBB4_6
.LBB4_2:
	v_mov_b32_e32 v5, 0
	s_load_dwordx2 s[16:17], s[4:5], 0x40
	s_waitcnt lgkmcnt(0)
	v_cmp_lt_i64_e64 s[0:1], s[16:17], 1
	s_and_b64 vcc, exec, s[0:1]
	s_cbranch_vccnz .LBB4_6
.LBB4_3:
	s_load_dwordx4 s[12:15], s[4:5], 0x1c
	s_load_dwordx4 s[0:3], s[4:5], 0x0
	v_mov_b32_e32 v1, s8
	v_alignbit_b32 v1, s9, v1, 25
	s_mov_b32 s24, 0xbfb8aa3b
	s_waitcnt lgkmcnt(0)
	s_ashr_i32 s7, s14, 31
	s_mul_hi_u32 s8, s18, s14
	s_mul_i32 s7, s18, s7
	v_mul_lo_u32 v1, v1, s14
	s_add_i32 s8, s8, s7
	s_mul_i32 s7, s18, s14
	v_add_u32_e32 v1, s8, v1
	s_ashr_i32 s8, s14, 2
	v_mov_b32_e32 v4, s7
	v_mul_lo_u32 v2, s8, v0
	v_mov_b32_e32 v6, s3
	v_add_co_u32_e32 v4, vcc, s2, v4
	s_load_dwordx2 s[2:3], s[4:5], 0x28
	s_load_dwordx4 s[8:11], s[4:5], 0x30
	s_ashr_i32 s4, s12, 31
	s_mul_hi_u32 s5, s18, s12
	s_mul_i32 s4, s18, s4
	s_add_i32 s4, s5, s4
	s_mul_i32 s5, s19, s12
	s_mul_i32 s7, s6, s13
	s_add_i32 s13, s4, s5
	s_waitcnt lgkmcnt(0)
	s_mul_i32 s4, s6, s10
	s_ashr_i32 s11, s7, 31
	s_ashr_i32 s5, s4, 31
	s_add_u32 s10, s2, s4
	s_addc_u32 s20, s3, s5
	s_ashr_i32 s6, s8, 31
	s_mul_hi_u32 s15, s18, s8
	s_mul_i32 s6, s18, s6
	s_add_i32 s6, s15, s6
	s_mul_i32 s15, s19, s8
	s_add_i32 s6, s6, s15
	s_mul_i32 s15, s18, s8
	s_mul_i32 s14, s18, s12
	s_add_u32 s18, s10, s15
	s_addc_u32 s19, s20, s6
	s_add_u32 s8, s0, s7
	s_addc_u32 s10, s1, s11
	v_ashrrev_i32_e32 v3, 31, v2
	s_add_u32 s8, s8, s14
	v_addc_co_u32_e32 v1, vcc, v6, v1, vcc
	v_lshlrev_b64 v[2:3], 2, v[2:3]
	s_addc_u32 s10, s10, s13
	s_ashr_i32 s12, s12, 2
	v_add_co_u32_e32 v16, vcc, v4, v2
	v_mul_lo_u32 v0, s12, v0
	v_addc_co_u32_e32 v17, vcc, v1, v3, vcc
	v_ashrrev_i32_e32 v1, 31, v0
	v_lshlrev_b64 v[10:11], 2, v[0:1]
	v_mov_b32_e32 v0, s10
	v_add_co_u32_e32 v18, vcc, s8, v10
	v_addc_co_u32_e32 v19, vcc, v0, v11, vcc
	global_load_dwordx4 v[0:3], v[18:19], off
	global_load_dwordx4 v[6:9], v[16:17], off
	global_load_dword v4, v[18:19], off offset:16
	global_load_dword v14, v[16:17], off offset:16
	s_mov_b32 s25, 0x42ce8ed0
	s_mov_b32 s26, 0xc2b17218
	s_cmp_eq_u64 s[16:17], 1
	s_waitcnt vmcnt(2)
	v_fma_f32 v13, v6, v0, 0
	v_fmac_f32_e32 v13, v7, v1
	v_fmac_f32_e32 v13, v8, v2
	;; [unrolled: 1-line block ×3, first 2 shown]
	s_waitcnt vmcnt(0)
	v_fmac_f32_e32 v13, v14, v4
	v_add_f32_e32 v13, v5, v13
	v_mul_f32_e32 v15, 0xbfb8aa3b, v13
	v_fma_f32 v16, v13, s24, -v15
	v_rndne_f32_e32 v17, v15
	v_fmac_f32_e32 v16, 0xb2a5705f, v13
	v_sub_f32_e32 v15, v15, v17
	v_add_f32_e32 v15, v15, v16
	v_cvt_i32_f32_e32 v17, v17
	v_exp_f32_e32 v16, v15
	v_cmp_nlt_f32_e32 vcc, s25, v13
	v_mov_b32_e32 v15, 0x7f800000
	v_ldexp_f32 v16, v16, v17
	v_cndmask_b32_e32 v16, 0, v16, vcc
	v_cmp_ngt_f32_e32 vcc, s26, v13
	v_cndmask_b32_e32 v16, v15, v16, vcc
	v_add_f32_e32 v16, 1.0, v16
	v_div_scale_f32 v17, s[20:21], v16, v16, v13
	v_rcp_f32_e32 v18, v17
	v_div_scale_f32 v19, vcc, v13, v16, v13
	v_fma_f32 v20, -v17, v18, 1.0
	v_fmac_f32_e32 v18, v20, v18
	v_mul_f32_e32 v20, v19, v18
	v_fma_f32 v21, -v17, v20, v19
	v_fmac_f32_e32 v20, v21, v18
	v_fma_f32 v17, -v17, v20, v19
	v_div_fmas_f32 v17, v17, v18, v20
	v_div_fixup_f32 v13, v17, v16, v13
	global_store_dword v12, v13, s[18:19]
	s_cbranch_scc1 .LBB4_6
; %bb.4:
	s_ashr_i32 s18, s9, 2
	s_ashr_i32 s19, s18, 31
	s_add_u32 s0, s0, s7
	s_addc_u32 s1, s1, s11
	s_add_u32 s0, s0, s14
	s_addc_u32 s1, s1, s13
	s_add_u32 s8, s16, -1
	s_addc_u32 s9, s17, -1
	s_lshl_b64 s[10:11], s[18:19], 2
	v_add_co_u32_e32 v10, vcc, s0, v10
	s_add_u32 s0, s15, s10
	v_mov_b32_e32 v13, s1
	s_addc_u32 s1, s6, s11
	s_add_u32 s2, s2, s4
	v_addc_co_u32_e32 v11, vcc, v13, v11, vcc
	s_addc_u32 s3, s3, s5
	v_add_co_u32_e32 v10, vcc, 20, v10
	s_add_u32 s0, s2, s0
	v_addc_co_u32_e32 v11, vcc, 0, v11, vcc
	s_addc_u32 s1, s3, s1
	v_mov_b32_e32 v13, s1
	v_add_co_u32_e32 v12, vcc, s0, v12
	v_addc_co_u32_e32 v13, vcc, 0, v13, vcc
	s_mov_b64 s[12:13], 1
	s_mov_b64 s[14:15], 5
	;; [unrolled: 1-line block ×6, first 2 shown]
	v_mov_b32_e32 v16, s11
.LBB4_5:                                ; =>This Inner Loop Header: Depth=1
	s_add_u32 s0, 0, 0x3330c000
	s_addc_u32 s1, 0, 0xb3
	s_mul_hi_u32 s3, s0, -5
	s_add_i32 s1, s1, 0x33333280
	s_sub_i32 s3, s3, s0
	s_mul_i32 s6, s1, -5
	s_mul_i32 s2, s0, -5
	s_add_i32 s3, s3, s6
	s_mul_hi_u32 s4, s0, s2
	s_mul_i32 s7, s0, s3
	s_mul_hi_u32 s6, s0, s3
	s_add_u32 s4, s4, s7
	s_mul_hi_u32 s5, s1, s2
	s_mul_i32 s2, s1, s2
	s_addc_u32 s6, 0, s6
	s_add_u32 s2, s4, s2
	s_mul_hi_u32 s11, s1, s3
	s_addc_u32 s2, s6, s5
	s_mul_i32 s3, s1, s3
	s_addc_u32 s4, s11, 0
	global_load_dword v17, v[10:11], off
	v_add_co_u32_e32 v10, vcc, 4, v10
	s_add_u32 s2, s2, s3
	v_addc_co_u32_e32 v11, vcc, 0, v11, vcc
	v_mov_b32_e32 v18, s2
	s_addc_u32 s3, 0, s4
	v_add_co_u32_e32 v18, vcc, s0, v18
	s_cmp_lg_u64 vcc, 0
	v_readfirstlane_b32 s0, v18
	s_addc_u32 s1, s1, s3
	s_mul_hi_u32 s2, s12, s0
	s_mul_i32 s39, s12, s1
	s_mul_hi_u32 s3, s13, s0
	s_mul_i32 s4, s13, s0
	s_mul_hi_u32 s5, s14, s0
	s_mul_hi_u32 s6, s15, s0
	s_mul_i32 s7, s15, s0
	s_mul_hi_u32 s11, s16, s0
	s_mul_hi_u32 s27, s17, s0
	s_mul_i32 s28, s17, s0
	s_mul_hi_u32 s29, s18, s0
	s_mul_hi_u32 s30, s19, s0
	s_mul_i32 s31, s19, s0
	s_mul_hi_u32 s33, s20, s0
	s_mul_hi_u32 s34, s21, s0
	s_mul_i32 s35, s21, s0
	s_mul_hi_u32 s36, s22, s0
	s_mul_hi_u32 s37, s23, s0
	s_mul_i32 s38, s23, s0
	s_mul_hi_u32 s0, s12, s1
	s_mul_hi_u32 s40, s13, s1
	s_mul_i32 s41, s13, s1
	s_mul_hi_u32 s42, s14, s1
	s_mul_i32 s43, s14, s1
	s_mul_hi_u32 s44, s15, s1
	s_mul_i32 s45, s15, s1
	s_mul_hi_u32 s46, s16, s1
	;; [unrolled: 2-line block ×9, first 2 shown]
	s_mul_i32 s61, s23, s1
	s_add_u32 s1, s2, s39
	s_addc_u32 s0, 0, s0
	s_add_u32 s1, s1, s4
	s_addc_u32 s0, s0, s3
	s_addc_u32 s1, s40, 0
	s_add_u32 s0, s0, s41
	s_addc_u32 s1, 0, s1
	s_mul_hi_u32 s2, s0, 5
	s_mul_i32 s0, s0, 5
	s_mul_i32 s1, s1, 5
	v_mov_b32_e32 v18, s0
	s_add_i32 s2, s2, s1
	v_sub_co_u32_e32 v18, vcc, s12, v18
	s_cmp_lg_u64 vcc, 0
	v_subrev_co_u32_e32 v19, vcc, 5, v18
	v_cmp_lt_u32_e64 s[0:1], 4, v18
	s_subb_u32 s2, s13, s2
	v_cndmask_b32_e64 v20, 0, -1, s[0:1]
	v_cmp_lt_u32_e64 s[0:1], 4, v19
	s_cmp_lg_u64 vcc, 0
	v_cndmask_b32_e64 v21, 0, -1, s[0:1]
	s_subb_u32 s0, s2, 0
	s_cmp_eq_u32 s0, 0
	s_cselect_b64 vcc, -1, 0
	v_cndmask_b32_e32 v21, -1, v21, vcc
	v_add_u32_e32 v22, -5, v19
	s_cmp_eq_u32 s2, 0
	v_cmp_ne_u32_e32 vcc, 0, v21
	v_cndmask_b32_e32 v19, v19, v22, vcc
	s_cselect_b64 vcc, -1, 0
	s_add_u32 s0, s5, s43
	s_addc_u32 s1, 0, s42
	s_add_u32 s0, s0, s7
	s_addc_u32 s0, s1, s6
	s_addc_u32 s1, s44, 0
	v_cndmask_b32_e32 v20, -1, v20, vcc
	s_add_u32 s0, s0, s45
	v_cmp_ne_u32_e32 vcc, 0, v20
	s_addc_u32 s1, 0, s1
	s_mul_hi_u32 s2, s0, 5
	s_mul_i32 s0, s0, 5
	v_cndmask_b32_e32 v18, v18, v19, vcc
	s_mul_i32 s1, s1, 5
	v_mov_b32_e32 v19, s0
	s_add_i32 s2, s2, s1
	v_sub_co_u32_e32 v19, vcc, s14, v19
	s_cmp_lg_u64 vcc, 0
	v_subrev_co_u32_e32 v20, vcc, 5, v19
	v_cmp_lt_u32_e64 s[0:1], 4, v19
	s_subb_u32 s2, s15, s2
	v_cndmask_b32_e64 v21, 0, -1, s[0:1]
	v_cmp_lt_u32_e64 s[0:1], 4, v20
	s_cmp_lg_u64 vcc, 0
	v_cndmask_b32_e64 v22, 0, -1, s[0:1]
	s_subb_u32 s0, s2, 0
	s_cmp_eq_u32 s0, 0
	s_cselect_b64 vcc, -1, 0
	v_cndmask_b32_e32 v22, -1, v22, vcc
	v_add_u32_e32 v23, -5, v20
	s_cmp_eq_u32 s2, 0
	v_cmp_ne_u32_e32 vcc, 0, v22
	v_cndmask_b32_e32 v20, v20, v23, vcc
	s_cselect_b64 vcc, -1, 0
	s_add_u32 s0, s11, s47
	s_addc_u32 s1, 0, s46
	s_add_u32 s0, s0, s28
	s_addc_u32 s0, s1, s27
	s_addc_u32 s1, s48, 0
	v_cndmask_b32_e32 v21, -1, v21, vcc
	s_add_u32 s0, s0, s49
	v_cmp_ne_u32_e32 vcc, 0, v21
	s_addc_u32 s1, 0, s1
	s_mul_hi_u32 s2, s0, 5
	s_mul_i32 s0, s0, 5
	v_cndmask_b32_e32 v19, v19, v20, vcc
	;; [unrolled: 33-line block ×5, first 2 shown]
	s_mul_i32 s1, s1, 5
	v_mov_b32_e32 v23, s0
	s_add_i32 s2, s2, s1
	v_sub_co_u32_e32 v23, vcc, s22, v23
	s_cmp_lg_u64 vcc, 0
	v_subrev_co_u32_e32 v24, vcc, 5, v23
	v_cmp_lt_u32_e64 s[0:1], 4, v23
	s_subb_u32 s2, s23, s2
	v_cndmask_b32_e64 v25, 0, -1, s[0:1]
	v_cmp_lt_u32_e64 s[0:1], 4, v24
	s_cmp_lg_u64 vcc, 0
	v_cndmask_b32_e64 v26, 0, -1, s[0:1]
	s_subb_u32 s0, s2, 0
	s_cmp_eq_u32 s0, 0
	s_cselect_b64 vcc, -1, 0
	v_cndmask_b32_e32 v26, -1, v26, vcc
	v_add_u32_e32 v27, -5, v24
	s_cmp_eq_u32 s2, 0
	v_cmp_ne_u32_e32 vcc, 0, v26
	v_cndmask_b32_e32 v24, v24, v27, vcc
	s_cselect_b64 vcc, -1, 0
	v_cndmask_b32_e32 v25, -1, v25, vcc
	v_cmp_ne_u32_e32 vcc, 0, v25
	v_cndmask_b32_e32 v23, v23, v24, vcc
	v_cmp_eq_u32_e32 vcc, 4, v23
	s_waitcnt vmcnt(0)
	v_cndmask_b32_e32 v4, v4, v17, vcc
	v_cmp_eq_u32_e32 vcc, 3, v23
	v_cndmask_b32_e32 v3, v3, v17, vcc
	v_cmp_eq_u32_e32 vcc, 2, v23
	;; [unrolled: 2-line block ×4, first 2 shown]
	v_cndmask_b32_e32 v0, v0, v17, vcc
	v_cmp_eq_u32_e64 s[6:7], 1, v18
	v_cmp_eq_u32_e32 vcc, 1, v22
	v_cndmask_b32_e64 v17, v0, v1, s[6:7]
	v_cmp_eq_u32_e64 s[6:7], 2, v18
	v_cmp_eq_u32_e64 s[0:1], 1, v21
	v_cndmask_b32_e32 v23, v0, v1, vcc
	v_cmp_eq_u32_e32 vcc, 2, v22
	v_cndmask_b32_e64 v17, v17, v2, s[6:7]
	v_cmp_eq_u32_e64 s[6:7], 3, v18
	v_cmp_eq_u32_e64 s[2:3], 1, v20
	v_cmp_eq_u32_e64 s[4:5], 1, v19
	v_cndmask_b32_e64 v24, v0, v1, s[0:1]
	v_cmp_eq_u32_e64 s[0:1], 2, v21
	v_cndmask_b32_e32 v23, v23, v2, vcc
	v_cmp_eq_u32_e32 vcc, 3, v22
	v_cndmask_b32_e64 v17, v17, v3, s[6:7]
	v_cmp_eq_u32_e64 s[6:7], 4, v18
	v_cndmask_b32_e64 v25, v0, v1, s[2:3]
	v_cmp_eq_u32_e64 s[2:3], 2, v20
	;; [unrolled: 2-line block ×4, first 2 shown]
	v_cndmask_b32_e32 v23, v23, v3, vcc
	v_cmp_eq_u32_e32 vcc, 4, v22
	v_cndmask_b32_e64 v17, v17, v4, s[6:7]
	v_cndmask_b32_e64 v25, v25, v2, s[2:3]
	v_cmp_eq_u32_e64 s[2:3], 3, v20
	v_cndmask_b32_e64 v26, v26, v2, s[4:5]
	v_cmp_eq_u32_e64 s[4:5], 3, v19
	;; [unrolled: 2-line block ×3, first 2 shown]
	v_cndmask_b32_e32 v18, v23, v4, vcc
	v_fma_f32 v17, v6, v17, 0
	v_cndmask_b32_e64 v21, v25, v3, s[2:3]
	v_cmp_eq_u32_e64 s[2:3], 4, v20
	v_cndmask_b32_e64 v20, v26, v3, s[4:5]
	v_cmp_eq_u32_e64 s[4:5], 4, v19
	v_cndmask_b32_e64 v19, v22, v4, s[0:1]
	v_fmac_f32_e32 v17, v7, v18
	v_cndmask_b32_e64 v21, v21, v4, s[2:3]
	v_fmac_f32_e32 v17, v8, v19
	;; [unrolled: 2-line block ×3, first 2 shown]
	v_fmac_f32_e32 v17, v14, v20
	v_add_f32_e32 v17, v5, v17
	v_mul_f32_e32 v18, 0xbfb8aa3b, v17
	v_fma_f32 v19, v17, s24, -v18
	v_rndne_f32_e32 v20, v18
	v_fmac_f32_e32 v19, 0xb2a5705f, v17
	v_sub_f32_e32 v18, v18, v20
	v_add_f32_e32 v18, v18, v19
	v_cvt_i32_f32_e32 v20, v20
	v_exp_f32_e32 v18, v18
	v_cmp_nlt_f32_e32 vcc, s25, v17
	s_add_u32 s12, s12, 1
	s_addc_u32 s13, s13, 0
	v_ldexp_f32 v18, v18, v20
	v_cndmask_b32_e32 v18, 0, v18, vcc
	v_cmp_ngt_f32_e32 vcc, s26, v17
	v_cndmask_b32_e32 v18, v15, v18, vcc
	v_add_f32_e32 v18, 1.0, v18
	v_div_scale_f32 v19, s[0:1], v18, v18, v17
	v_rcp_f32_e32 v21, v19
	s_add_u32 s14, s14, 1
	s_addc_u32 s15, s15, 0
	s_add_u32 s16, s16, 1
	s_addc_u32 s17, s17, 0
	v_fma_f32 v22, -v19, v21, 1.0
	s_add_u32 s18, s18, 1
	v_div_scale_f32 v20, vcc, v17, v18, v17
	v_fmac_f32_e32 v21, v22, v21
	s_addc_u32 s19, s19, 0
	v_mul_f32_e32 v22, v20, v21
	s_add_u32 s8, s8, -1
	v_fma_f32 v23, -v19, v22, v20
	s_addc_u32 s9, s9, -1
	v_fmac_f32_e32 v22, v23, v21
	s_add_u32 s20, s20, 1
	v_fma_f32 v19, -v19, v22, v20
	s_addc_u32 s21, s21, 0
	v_div_fmas_f32 v19, v19, v21, v22
	s_add_u32 s22, s22, 1
	v_div_fixup_f32 v17, v19, v18, v17
	s_addc_u32 s23, s23, 0
	global_store_dword v[12:13], v17, off
	v_add_co_u32_e32 v12, vcc, s10, v12
	s_cmp_eq_u64 s[8:9], 0
	v_addc_co_u32_e32 v13, vcc, v13, v16, vcc
	s_cbranch_scc0 .LBB4_5
.LBB4_6:
	s_endpgm
	.section	.rodata,"a",@progbits
	.p2align	6, 0x0
	.amdhsa_kernel _ZL12ssm_conv_f32ILb1ELm128ELm5EEvPKfS1_S1_iiiiPfiiil
		.amdhsa_group_segment_fixed_size 0
		.amdhsa_private_segment_fixed_size 0
		.amdhsa_kernarg_size 72
		.amdhsa_user_sgpr_count 6
		.amdhsa_user_sgpr_private_segment_buffer 1
		.amdhsa_user_sgpr_dispatch_ptr 0
		.amdhsa_user_sgpr_queue_ptr 0
		.amdhsa_user_sgpr_kernarg_segment_ptr 1
		.amdhsa_user_sgpr_dispatch_id 0
		.amdhsa_user_sgpr_flat_scratch_init 0
		.amdhsa_user_sgpr_kernarg_preload_length 0
		.amdhsa_user_sgpr_kernarg_preload_offset 0
		.amdhsa_user_sgpr_private_segment_size 0
		.amdhsa_uses_dynamic_stack 0
		.amdhsa_system_sgpr_private_segment_wavefront_offset 0
		.amdhsa_system_sgpr_workgroup_id_x 1
		.amdhsa_system_sgpr_workgroup_id_y 1
		.amdhsa_system_sgpr_workgroup_id_z 0
		.amdhsa_system_sgpr_workgroup_info 0
		.amdhsa_system_vgpr_workitem_id 0
		.amdhsa_next_free_vgpr 28
		.amdhsa_next_free_sgpr 62
		.amdhsa_accum_offset 28
		.amdhsa_reserve_vcc 1
		.amdhsa_reserve_flat_scratch 0
		.amdhsa_float_round_mode_32 0
		.amdhsa_float_round_mode_16_64 0
		.amdhsa_float_denorm_mode_32 3
		.amdhsa_float_denorm_mode_16_64 3
		.amdhsa_dx10_clamp 1
		.amdhsa_ieee_mode 1
		.amdhsa_fp16_overflow 0
		.amdhsa_tg_split 0
		.amdhsa_exception_fp_ieee_invalid_op 0
		.amdhsa_exception_fp_denorm_src 0
		.amdhsa_exception_fp_ieee_div_zero 0
		.amdhsa_exception_fp_ieee_overflow 0
		.amdhsa_exception_fp_ieee_underflow 0
		.amdhsa_exception_fp_ieee_inexact 0
		.amdhsa_exception_int_div_zero 0
	.end_amdhsa_kernel
	.section	.text._ZL12ssm_conv_f32ILb1ELm128ELm5EEvPKfS1_S1_iiiiPfiiil,"axG",@progbits,_ZL12ssm_conv_f32ILb1ELm128ELm5EEvPKfS1_S1_iiiiPfiiil,comdat
.Lfunc_end4:
	.size	_ZL12ssm_conv_f32ILb1ELm128ELm5EEvPKfS1_S1_iiiiPfiiil, .Lfunc_end4-_ZL12ssm_conv_f32ILb1ELm128ELm5EEvPKfS1_S1_iiiiPfiiil
                                        ; -- End function
	.section	.AMDGPU.csdata,"",@progbits
; Kernel info:
; codeLenInByte = 2552
; NumSgprs: 66
; NumVgprs: 28
; NumAgprs: 0
; TotalNumVgprs: 28
; ScratchSize: 0
; MemoryBound: 0
; FloatMode: 240
; IeeeMode: 1
; LDSByteSize: 0 bytes/workgroup (compile time only)
; SGPRBlocks: 8
; VGPRBlocks: 3
; NumSGPRsForWavesPerEU: 66
; NumVGPRsForWavesPerEU: 28
; AccumOffset: 28
; Occupancy: 8
; WaveLimiterHint : 0
; COMPUTE_PGM_RSRC2:SCRATCH_EN: 0
; COMPUTE_PGM_RSRC2:USER_SGPR: 6
; COMPUTE_PGM_RSRC2:TRAP_HANDLER: 0
; COMPUTE_PGM_RSRC2:TGID_X_EN: 1
; COMPUTE_PGM_RSRC2:TGID_Y_EN: 1
; COMPUTE_PGM_RSRC2:TGID_Z_EN: 0
; COMPUTE_PGM_RSRC2:TIDIG_COMP_CNT: 0
; COMPUTE_PGM_RSRC3_GFX90A:ACCUM_OFFSET: 6
; COMPUTE_PGM_RSRC3_GFX90A:TG_SPLIT: 0
	.section	.text._ZL23ssm_conv_long_token_f32ILb1ELm128ELm5ELl32EEvPKfS1_S1_iiiiPfiiil,"axG",@progbits,_ZL23ssm_conv_long_token_f32ILb1ELm128ELm5ELl32EEvPKfS1_S1_iiiiPfiiil,comdat
	.globl	_ZL23ssm_conv_long_token_f32ILb1ELm128ELm5ELl32EEvPKfS1_S1_iiiiPfiiil ; -- Begin function _ZL23ssm_conv_long_token_f32ILb1ELm128ELm5ELl32EEvPKfS1_S1_iiiiPfiiil
	.p2align	8
	.type	_ZL23ssm_conv_long_token_f32ILb1ELm128ELm5ELl32EEvPKfS1_S1_iiiiPfiiil,@function
_ZL23ssm_conv_long_token_f32ILb1ELm128ELm5ELl32EEvPKfS1_S1_iiiiPfiiil: ; @_ZL23ssm_conv_long_token_f32ILb1ELm128ELm5ELl32EEvPKfS1_S1_iiiiPfiiil
; %bb.0:
	s_load_dwordx4 s[0:3], s[4:5], 0x18
	s_load_dwordx2 s[12:13], s[4:5], 0x0
	s_mov_b32 s10, s7
	v_mov_b32_e32 v1, s10
	s_waitcnt lgkmcnt(0)
	s_mul_i32 s2, s6, s2
	s_ashr_i32 s7, s2, 31
	s_add_u32 s2, s12, s2
	s_addc_u32 s7, s13, s7
	s_ashr_i32 s11, s10, 31
	s_lshl_b64 s[12:13], s[10:11], 7
	s_ashr_i32 s9, s1, 31
	s_mul_i32 s9, s12, s9
	s_mul_hi_u32 s10, s12, s1
	v_alignbit_b32 v1, s11, v1, 25
	s_add_i32 s10, s10, s9
	s_mul_i32 s9, s12, s1
	v_mul_lo_u32 v1, v1, s1
	v_mov_b32_e32 v2, s9
	v_add_u32_e32 v1, s10, v1
	v_mov_b32_e32 v3, s7
	v_add_co_u32_e32 v2, vcc, s2, v2
	s_ashr_i32 s9, s8, 31
	v_addc_co_u32_e32 v3, vcc, v3, v1, vcc
	s_lshl_b64 s[14:15], s[8:9], 5
	s_ashr_i32 s2, s0, 31
	v_mov_b32_e32 v1, s8
	v_alignbit_b32 v1, s9, v1, 27
	s_mul_i32 s2, s14, s2
	s_mul_hi_u32 s7, s14, s0
	v_mul_lo_u32 v1, v1, s0
	s_add_i32 s7, s7, s2
	s_mul_i32 s0, s14, s0
	v_add_u32_e32 v4, s7, v1
	v_add_co_u32_e32 v1, vcc, s0, v2
	v_mul_u32_u24_e32 v2, 0x71d, v0
	v_lshrrev_b32_e32 v7, 16, v2
	v_mul_lo_u16_e32 v2, 36, v7
	v_sub_u16_e32 v2, v0, v2
	v_or_b32_e32 v6, 0x80, v2
	v_mul_lo_u16_e32 v8, 57, v6
	v_lshrrev_b16_e32 v8, 11, v8
	v_addc_co_u32_e32 v3, vcc, v3, v4, vcc
	s_ashr_i32 s2, s1, 2
	v_add_u32_e32 v15, v7, v8
	v_mul_lo_u16_e32 v8, 36, v8
	v_mad_u64_u32 v[4:5], s[0:1], s2, v7, v[2:3]
	v_sub_u16_e32 v6, v6, v8
	v_ashrrev_i32_e32 v5, 31, v4
	v_and_b32_e32 v6, 0xff, v6
	v_lshlrev_b64 v[4:5], 2, v[4:5]
	v_mad_u64_u32 v[8:9], s[0:1], v15, s2, v[6:7]
	v_add_co_u32_e32 v4, vcc, v1, v4
	v_ashrrev_i32_e32 v9, 31, v8
	v_addc_co_u32_e32 v5, vcc, v3, v5, vcc
	v_lshlrev_b64 v[8:9], 2, v[8:9]
	v_add_co_u32_e32 v10, vcc, v1, v8
	v_or_b32_e32 v8, 0x80, v6
	v_addc_co_u32_e32 v11, vcc, v3, v9, vcc
	v_mul_lo_u16_e32 v9, 57, v8
	v_lshrrev_b16_e32 v9, 11, v9
	v_add_u32_e32 v19, v15, v9
	v_mul_lo_u16_e32 v9, 36, v9
	v_sub_u16_e32 v8, v8, v9
	v_and_b32_e32 v8, 0xff, v8
	v_mad_u64_u32 v[12:13], s[0:1], v19, s2, v[8:9]
	v_or_b32_e32 v9, 0x80, v8
	v_mul_lo_u16_e32 v14, 57, v9
	v_lshrrev_b16_e32 v14, 11, v14
	v_add_u32_e32 v22, v19, v14
	v_mul_lo_u16_e32 v14, 36, v14
	v_sub_u16_e32 v9, v9, v14
	v_and_b32_e32 v14, 0xff, v9
	v_or_b32_e32 v9, 0x80, v14
	v_mul_lo_u16_e32 v18, 57, v9
	v_lshrrev_b16_e32 v18, 11, v18
	v_ashrrev_i32_e32 v13, 31, v12
	v_add_u32_e32 v23, v22, v18
	v_mul_lo_u16_e32 v18, 36, v18
	v_lshlrev_b64 v[12:13], 2, v[12:13]
	v_mad_u64_u32 v[16:17], s[0:1], v22, s2, v[14:15]
	v_sub_u16_e32 v9, v9, v18
	v_add_co_u32_e32 v12, vcc, v1, v12
	v_ashrrev_i32_e32 v17, 31, v16
	v_and_b32_e32 v18, 0xff, v9
	v_addc_co_u32_e32 v13, vcc, v3, v13, vcc
	v_lshlrev_b64 v[16:17], 2, v[16:17]
	v_mad_u64_u32 v[20:21], s[0:1], v23, s2, v[18:19]
	v_add_co_u32_e32 v16, vcc, v1, v16
	v_ashrrev_i32_e32 v21, 31, v20
	v_addc_co_u32_e32 v17, vcc, v3, v17, vcc
	v_lshlrev_b64 v[20:21], 2, v[20:21]
	v_add_co_u32_e32 v20, vcc, v1, v20
	v_addc_co_u32_e32 v21, vcc, v3, v21, vcc
	global_load_dword v24, v[4:5], off
	global_load_dword v25, v[10:11], off
	;; [unrolled: 1-line block ×5, first 2 shown]
	v_or_b32_e32 v4, 0x80, v18
	v_mul_lo_u16_e32 v5, 57, v4
	v_lshrrev_b16_e32 v5, 11, v5
	v_add_u32_e32 v11, v23, v5
	v_mul_lo_u16_e32 v5, 36, v5
	v_sub_u16_e32 v4, v4, v5
	v_and_b32_e32 v10, 0xff, v4
	v_mad_u64_u32 v[4:5], s[0:1], v11, s2, v[10:11]
	v_ashrrev_i32_e32 v5, 31, v4
	v_lshlrev_b64 v[4:5], 2, v[4:5]
	v_add_co_u32_e32 v4, vcc, v1, v4
	v_addc_co_u32_e32 v5, vcc, v3, v5, vcc
	global_load_dword v29, v[4:5], off
	v_mad_u32_u24 v2, v7, 36, v2
	v_lshl_add_u32 v30, v2, 2, 0
	v_or_b32_e32 v2, 0x80, v10
	v_mul_lo_u16_e32 v4, 57, v2
	v_lshrrev_b16_e32 v4, 11, v4
	v_add_u32_e32 v5, v11, v4
	v_mul_lo_u16_e32 v4, 36, v4
	v_sub_u16_e32 v2, v2, v4
	v_and_b32_e32 v2, 0xff, v2
	v_or_b32_e32 v4, 0x80, v2
	v_mul_lo_u16_e32 v7, 57, v4
	v_mad_u64_u32 v[12:13], s[0:1], v5, s2, v[2:3]
	v_lshrrev_b16_e32 v9, 11, v7
	v_ashrrev_i32_e32 v13, 31, v12
	v_add_u32_e32 v7, v5, v9
	v_mul_lo_u16_e32 v9, 36, v9
	v_lshlrev_b64 v[12:13], 2, v[12:13]
	v_sub_u16_e32 v4, v4, v9
	v_add_co_u32_e32 v16, vcc, v1, v12
	v_and_b32_e32 v4, 0xff, v4
	v_addc_co_u32_e32 v17, vcc, v3, v13, vcc
	v_mad_u64_u32 v[12:13], s[0:1], v7, s2, v[4:5]
	v_ashrrev_i32_e32 v13, 31, v12
	v_lshlrev_b64 v[12:13], 2, v[12:13]
	v_add_co_u32_e32 v20, vcc, v1, v12
	v_addc_co_u32_e32 v21, vcc, v3, v13, vcc
	global_load_dword v9, v[16:17], off
	global_load_dword v13, v[20:21], off
	v_mad_u32_u24 v6, v15, 36, v6
	v_lshl_add_u32 v6, v6, 2, 0
	s_movk_i32 s7, 0x80
	s_waitcnt vmcnt(7)
	ds_write_b32 v30, v24
	s_waitcnt vmcnt(6)
	ds_write_b32 v6, v25
	v_mad_u32_u24 v6, v19, 36, v8
	v_lshl_add_u32 v6, v6, 2, 0
	s_waitcnt vmcnt(5)
	ds_write_b32 v6, v26
	v_mad_u32_u24 v6, v22, 36, v14
	v_lshl_add_u32 v6, v6, 2, 0
	s_waitcnt vmcnt(4)
	ds_write_b32 v6, v27
	v_mad_u32_u24 v6, v23, 36, v18
	v_lshl_add_u32 v6, v6, 2, 0
	s_waitcnt vmcnt(3)
	ds_write_b32 v6, v28
	v_mad_u32_u24 v6, v11, 36, v10
	v_lshl_add_u32 v6, v6, 2, 0
	s_waitcnt vmcnt(2)
	ds_write_b32 v6, v29
	v_or_b32_e32 v6, 0x80, v4
	v_mul_lo_u16_e32 v8, 57, v6
	v_lshrrev_b16_e32 v8, 11, v8
	v_add_u32_e32 v17, v7, v8
	v_mul_lo_u16_e32 v8, 36, v8
	v_sub_u16_e32 v6, v6, v8
	v_and_b32_e32 v6, 0xff, v6
	v_or_b32_e32 v8, 0x80, v6
	v_mul_lo_u16_e32 v12, 57, v8
	v_lshrrev_b16_e32 v12, 11, v12
	v_add_u32_e32 v19, v17, v12
	v_mul_lo_u16_e32 v12, 36, v12
	v_sub_u16_e32 v8, v8, v12
	v_and_b32_e32 v8, 0xff, v8
	;; [unrolled: 7-line block ×3, first 2 shown]
	v_mad_u64_u32 v[10:11], s[0:1], v17, s2, v[6:7]
	v_or_b32_e32 v16, 0x80, v12
	v_ashrrev_i32_e32 v11, 31, v10
	v_mul_lo_u16_e32 v18, 57, v16
	v_lshlrev_b64 v[10:11], 2, v[10:11]
	v_lshrrev_b16_e32 v18, 11, v18
	v_add_co_u32_e32 v10, vcc, v1, v10
	v_add_u32_e32 v47, v43, v18
	s_waitcnt vmcnt(1)
	v_mad_u64_u32 v[14:15], s[0:1], v19, s2, v[8:9]
	v_ashrrev_i32_e32 v15, 31, v14
	v_mul_lo_u16_e32 v18, 36, v18
	v_addc_co_u32_e32 v11, vcc, v3, v11, vcc
	v_lshlrev_b64 v[14:15], 2, v[14:15]
	s_waitcnt vmcnt(0)
	v_mad_u64_u32 v[20:21], s[0:1], v43, s2, v[12:13]
	v_sub_u16_e32 v16, v16, v18
	v_add_co_u32_e32 v14, vcc, v1, v14
	v_ashrrev_i32_e32 v21, 31, v20
	v_and_b32_e32 v16, 0xff, v16
	v_addc_co_u32_e32 v15, vcc, v3, v15, vcc
	v_lshlrev_b64 v[20:21], 2, v[20:21]
	v_mad_u64_u32 v[22:23], s[0:1], v47, s2, v[16:17]
	v_add_co_u32_e32 v20, vcc, v1, v20
	v_ashrrev_i32_e32 v23, 31, v22
	v_addc_co_u32_e32 v21, vcc, v3, v21, vcc
	v_lshlrev_b64 v[22:23], 2, v[22:23]
	v_or_b32_e32 v18, 0x80, v16
	v_add_co_u32_e32 v24, vcc, v1, v22
	v_mul_lo_u16_e32 v22, 57, v18
	v_lshrrev_b16_e32 v22, 11, v22
	v_add_u32_e32 v51, v47, v22
	v_mul_lo_u16_e32 v22, 36, v22
	v_sub_u16_e32 v18, v18, v22
	v_and_b32_e32 v18, 0xff, v18
	v_addc_co_u32_e32 v25, vcc, v3, v23, vcc
	v_mad_u64_u32 v[22:23], s[0:1], v51, s2, v[18:19]
	v_ashrrev_i32_e32 v23, 31, v22
	v_lshlrev_b64 v[22:23], 2, v[22:23]
	v_add_co_u32_e32 v28, vcc, v1, v22
	v_or_b32_e32 v22, 0x80, v18
	v_addc_co_u32_e32 v29, vcc, v3, v23, vcc
	v_mul_lo_u16_e32 v23, 57, v22
	v_lshrrev_b16_e32 v23, 11, v23
	v_add_u32_e32 v54, v51, v23
	v_mul_lo_u16_e32 v23, 36, v23
	v_sub_u16_e32 v22, v22, v23
	v_and_b32_e32 v22, 0xff, v22
	v_mad_u64_u32 v[26:27], s[0:1], v54, s2, v[22:23]
	v_ashrrev_i32_e32 v27, 31, v26
	v_lshlrev_b64 v[26:27], 2, v[26:27]
	v_or_b32_e32 v23, 0x80, v22
	v_add_co_u32_e32 v32, vcc, v1, v26
	v_mul_lo_u16_e32 v26, 57, v23
	v_lshrrev_b16_e32 v26, 11, v26
	v_addc_co_u32_e32 v33, vcc, v3, v27, vcc
	v_add_u32_e32 v27, v54, v26
	v_mul_lo_u16_e32 v26, 36, v26
	v_sub_u16_e32 v23, v23, v26
	v_and_b32_e32 v26, 0xff, v23
	v_mad_u64_u32 v[30:31], s[0:1], v27, s2, v[26:27]
	v_ashrrev_i32_e32 v31, 31, v30
	v_lshlrev_b64 v[30:31], 2, v[30:31]
	v_or_b32_e32 v23, 0x80, v26
	v_add_co_u32_e32 v36, vcc, v1, v30
	v_mul_lo_u16_e32 v30, 57, v23
	v_lshrrev_b16_e32 v30, 11, v30
	v_addc_co_u32_e32 v37, vcc, v3, v31, vcc
	;; [unrolled: 12-line block ×3, first 2 shown]
	v_add_u32_e32 v35, v31, v34
	v_mul_lo_u16_e32 v34, 36, v34
	v_sub_u16_e32 v23, v23, v34
	v_and_b32_e32 v34, 0xff, v23
	v_or_b32_e32 v23, 0x80, v34
	v_mul_lo_u16_e32 v42, 57, v23
	v_lshrrev_b16_e32 v42, 11, v42
	v_add_u32_e32 v55, v35, v42
	v_mul_lo_u16_e32 v42, 36, v42
	v_sub_u16_e32 v23, v23, v42
	v_and_b32_e32 v42, 0xff, v23
	v_or_b32_e32 v23, 0x80, v42
	v_mul_lo_u16_e32 v46, 57, v23
	v_lshrrev_b16_e32 v46, 11, v46
	v_mul_lo_u16_e32 v48, 36, v46
	v_sub_u16_e32 v23, v23, v48
	v_add_u32_e32 v56, v55, v46
	v_and_b32_e32 v46, 0xff, v23
	v_mad_u64_u32 v[40:41], s[0:1], v35, s2, v[34:35]
	v_or_b32_e32 v23, 0x80, v46
	v_ashrrev_i32_e32 v41, 31, v40
	v_mul_lo_u16_e32 v50, 57, v23
	v_lshlrev_b64 v[40:41], 2, v[40:41]
	v_mad_u64_u32 v[44:45], s[0:1], v55, s2, v[42:43]
	v_lshrrev_b16_e32 v50, 11, v50
	v_add_co_u32_e32 v40, vcc, v1, v40
	v_ashrrev_i32_e32 v45, 31, v44
	v_mul_lo_u16_e32 v52, 36, v50
	v_addc_co_u32_e32 v41, vcc, v3, v41, vcc
	v_lshlrev_b64 v[44:45], 2, v[44:45]
	v_mad_u64_u32 v[48:49], s[0:1], v56, s2, v[46:47]
	v_sub_u16_e32 v23, v23, v52
	v_add_co_u32_e32 v44, vcc, v1, v44
	v_ashrrev_i32_e32 v49, 31, v48
	v_add_u32_e32 v57, v56, v50
	v_and_b32_e32 v50, 0xff, v23
	v_addc_co_u32_e32 v45, vcc, v3, v45, vcc
	v_lshlrev_b64 v[48:49], 2, v[48:49]
	v_mad_u64_u32 v[52:53], s[0:1], v57, s2, v[50:51]
	v_add_co_u32_e32 v48, vcc, v1, v48
	v_ashrrev_i32_e32 v53, 31, v52
	v_addc_co_u32_e32 v49, vcc, v3, v49, vcc
	v_lshlrev_b64 v[52:53], 2, v[52:53]
	v_add_co_u32_e32 v52, vcc, v1, v52
	v_addc_co_u32_e32 v53, vcc, v3, v53, vcc
	global_load_dword v23, v[10:11], off
	global_load_dword v58, v[14:15], off
	;; [unrolled: 1-line block ×7, first 2 shown]
                                        ; kill: killed $vgpr36 killed $vgpr37
                                        ; kill: killed $vgpr20 killed $vgpr21
                                        ; kill: killed $vgpr24 killed $vgpr25
                                        ; kill: killed $vgpr28 killed $vgpr29
                                        ; kill: killed $vgpr10 killed $vgpr11
                                        ; kill: killed $vgpr32 killed $vgpr33
                                        ; kill: killed $vgpr14 killed $vgpr15
	global_load_dword v14, v[38:39], off
	global_load_dword v15, v[40:41], off
	;; [unrolled: 1-line block ×5, first 2 shown]
	v_mad_u64_u32 v[10:11], s[0:1], v5, 36, v[2:3]
	v_lshl_add_u32 v2, v10, 2, 0
	v_mad_u64_u32 v[4:5], s[0:1], v7, 36, v[4:5]
	ds_write_b32 v2, v9
	v_lshl_add_u32 v2, v4, 2, 0
	v_mad_u64_u32 v[4:5], s[0:1], v17, 36, v[6:7]
	ds_write_b32 v2, v13
	v_lshl_add_u32 v2, v4, 2, 0
	v_mad_u64_u32 v[4:5], s[0:1], v19, 36, v[8:9]
	s_waitcnt vmcnt(11)
	ds_write_b32 v2, v23
	v_lshl_add_u32 v2, v4, 2, 0
	v_mad_u64_u32 v[4:5], s[0:1], v43, 36, v[12:13]
	s_waitcnt vmcnt(10)
	;; [unrolled: 4-line block ×11, first 2 shown]
	ds_write_b32 v2, v21
	v_lshl_add_u32 v2, v4, 2, 0
	s_waitcnt vmcnt(0)
	ds_write_b32 v2, v24
	v_or_b32_e32 v2, 0x80, v50
	v_mul_lo_u16_e32 v4, 57, v2
	v_lshrrev_b16_e32 v5, 11, v4
	v_add_u32_e32 v4, v57, v5
	v_mul_lo_u16_e32 v5, 36, v5
	v_sub_u16_e32 v2, v2, v5
	v_and_b32_e32 v2, 0xff, v2
	v_cmp_gt_u32_e32 vcc, s7, v4
	s_and_saveexec_b64 s[0:1], vcc
	s_cbranch_execz .LBB5_2
; %bb.1:
	v_mad_u64_u32 v[6:7], s[8:9], v4, s2, v[2:3]
	v_ashrrev_i32_e32 v7, 31, v6
	v_lshlrev_b64 v[6:7], 2, v[6:7]
	v_add_co_u32_e32 v6, vcc, v1, v6
	v_addc_co_u32_e32 v7, vcc, v3, v7, vcc
	global_load_dword v5, v[6:7], off
	v_mad_u64_u32 v[6:7], s[8:9], v4, 36, v[2:3]
	v_lshl_add_u32 v6, v6, 2, 0
	s_waitcnt vmcnt(0)
	ds_write_b32 v6, v5
.LBB5_2:
	s_or_b64 exec, exec, s[0:1]
	v_or_b32_e32 v2, 0x80, v2
	v_mul_lo_u16_e32 v5, 57, v2
	v_lshrrev_b16_e32 v5, 11, v5
	v_add_u32_e32 v4, v4, v5
	v_mul_lo_u16_e32 v5, 36, v5
	v_sub_u16_e32 v2, v2, v5
	v_and_b32_e32 v2, 0xff, v2
	v_cmp_gt_u32_e32 vcc, s7, v4
	s_and_saveexec_b64 s[0:1], vcc
	s_cbranch_execz .LBB5_4
; %bb.3:
	v_mad_u64_u32 v[6:7], s[8:9], v4, s2, v[2:3]
	v_ashrrev_i32_e32 v7, 31, v6
	v_lshlrev_b64 v[6:7], 2, v[6:7]
	v_add_co_u32_e32 v6, vcc, v1, v6
	v_addc_co_u32_e32 v7, vcc, v3, v7, vcc
	global_load_dword v5, v[6:7], off
	v_mad_u64_u32 v[6:7], s[8:9], v4, 36, v[2:3]
	v_lshl_add_u32 v6, v6, 2, 0
	s_waitcnt vmcnt(0)
	ds_write_b32 v6, v5
.LBB5_4:
	s_or_b64 exec, exec, s[0:1]
	;; [unrolled: 23-line block ×8, first 2 shown]
	v_or_b32_e32 v2, 0x80, v2
	v_mul_lo_u16_e32 v5, 57, v2
	v_lshrrev_b16_e32 v5, 11, v5
	v_add_u32_e32 v4, v4, v5
	v_mul_lo_u16_e32 v5, 36, v5
	s_movk_i32 s0, 0x80
	v_sub_u16_e32 v2, v2, v5
	v_and_b32_e32 v2, 0xff, v2
	v_cmp_gt_u32_e32 vcc, s0, v4
	s_and_saveexec_b64 s[0:1], vcc
	s_cbranch_execz .LBB5_18
; %bb.17:
	v_mad_u64_u32 v[6:7], s[8:9], v4, s2, v[2:3]
	v_ashrrev_i32_e32 v7, 31, v6
	v_lshlrev_b64 v[6:7], 2, v[6:7]
	v_add_co_u32_e32 v6, vcc, v1, v6
	v_addc_co_u32_e32 v7, vcc, v3, v7, vcc
	global_load_dword v5, v[6:7], off
	v_mad_u64_u32 v[6:7], s[8:9], v4, 36, v[2:3]
	v_lshl_add_u32 v6, v6, 2, 0
	s_waitcnt vmcnt(0)
	ds_write_b32 v6, v5
.LBB5_18:
	s_or_b64 exec, exec, s[0:1]
	s_load_dwordx4 s[8:11], s[4:5], 0x8
	s_load_dwordx2 s[16:17], s[4:5], 0x28
	s_movk_i32 s0, 0x380
	v_cmp_gt_u32_e32 vcc, s0, v0
	s_and_saveexec_b64 s[0:1], vcc
	s_cbranch_execz .LBB5_39
; %bb.19:
	v_or_b32_e32 v2, 0x80, v2
	v_mul_lo_u16_e32 v5, 57, v2
	v_lshrrev_b16_e32 v5, 11, v5
	v_add_u32_e32 v4, v4, v5
	v_mul_lo_u16_e32 v5, 36, v5
	v_sub_u16_e32 v2, v2, v5
	v_and_b32_e32 v2, 0xff, v2
	v_cmp_gt_u32_e32 vcc, s7, v4
	s_and_saveexec_b64 s[18:19], vcc
	s_cbranch_execz .LBB5_21
; %bb.20:
	v_mad_u64_u32 v[6:7], s[20:21], v4, s2, v[2:3]
	v_ashrrev_i32_e32 v7, 31, v6
	v_lshlrev_b64 v[6:7], 2, v[6:7]
	v_add_co_u32_e32 v6, vcc, v1, v6
	v_addc_co_u32_e32 v7, vcc, v3, v7, vcc
	global_load_dword v5, v[6:7], off
	v_mad_u64_u32 v[6:7], s[20:21], v4, 36, v[2:3]
	v_lshl_add_u32 v6, v6, 2, 0
	s_waitcnt vmcnt(0)
	ds_write_b32 v6, v5
.LBB5_21:
	s_or_b64 exec, exec, s[18:19]
	s_movk_i32 s7, 0x300
	v_cmp_gt_u32_e32 vcc, s7, v0
	s_and_b64 exec, exec, vcc
	s_cbranch_execz .LBB5_39
; %bb.22:
	v_or_b32_e32 v2, 0x80, v2
	v_mul_lo_u16_e32 v5, 57, v2
	v_lshrrev_b16_e32 v5, 11, v5
	v_add_u32_e32 v4, v4, v5
	v_mul_lo_u16_e32 v5, 36, v5
	s_movk_i32 s7, 0x80
	v_sub_u16_e32 v2, v2, v5
	v_and_b32_e32 v2, 0xff, v2
	v_cmp_gt_u32_e32 vcc, s7, v4
	s_and_saveexec_b64 s[18:19], vcc
	s_cbranch_execz .LBB5_24
; %bb.23:
	v_mad_u64_u32 v[6:7], s[20:21], v4, s2, v[2:3]
	v_ashrrev_i32_e32 v7, 31, v6
	v_lshlrev_b64 v[6:7], 2, v[6:7]
	v_add_co_u32_e32 v6, vcc, v1, v6
	v_addc_co_u32_e32 v7, vcc, v3, v7, vcc
	global_load_dword v5, v[6:7], off
	v_mad_u64_u32 v[6:7], s[20:21], v4, 36, v[2:3]
	v_lshl_add_u32 v6, v6, 2, 0
	s_waitcnt vmcnt(0)
	ds_write_b32 v6, v5
.LBB5_24:
	s_or_b64 exec, exec, s[18:19]
	s_movk_i32 s7, 0x280
	v_cmp_gt_u32_e32 vcc, s7, v0
	s_and_b64 exec, exec, vcc
	s_cbranch_execz .LBB5_39
; %bb.25:
	v_or_b32_e32 v2, 0x80, v2
	v_mul_lo_u16_e32 v5, 57, v2
	v_lshrrev_b16_e32 v5, 11, v5
	v_add_u32_e32 v4, v4, v5
	v_mul_lo_u16_e32 v5, 36, v5
	s_movk_i32 s7, 0x80
	;; [unrolled: 29-line block ×5, first 2 shown]
	v_sub_u16_e32 v2, v2, v5
	v_and_b32_e32 v2, 0xff, v2
	v_cmp_gt_u32_e32 vcc, s7, v4
	s_and_saveexec_b64 s[18:19], vcc
	s_cbranch_execz .LBB5_36
; %bb.35:
	v_mad_u64_u32 v[6:7], s[20:21], v4, s2, v[2:3]
	v_ashrrev_i32_e32 v7, 31, v6
	v_lshlrev_b64 v[6:7], 2, v[6:7]
	v_add_co_u32_e32 v6, vcc, v1, v6
	v_addc_co_u32_e32 v7, vcc, v3, v7, vcc
	global_load_dword v5, v[6:7], off
	v_mad_u64_u32 v[6:7], s[20:21], v4, 36, v[2:3]
	v_lshl_add_u32 v6, v6, 2, 0
	s_waitcnt vmcnt(0)
	ds_write_b32 v6, v5
.LBB5_36:
	s_or_b64 exec, exec, s[18:19]
	v_cmp_gt_u32_e32 vcc, s7, v0
	s_and_b64 exec, exec, vcc
	s_cbranch_execz .LBB5_39
; %bb.37:
	v_or_b32_e32 v5, 0x80, v2
	v_mul_lo_u16_e32 v2, 57, v5
	v_lshrrev_b16_e32 v6, 11, v2
	v_add_u32_e32 v2, v4, v6
	v_cmp_gt_u32_e32 vcc, s7, v2
	s_and_b64 exec, exec, vcc
	s_cbranch_execz .LBB5_39
; %bb.38:
	v_mul_lo_u16_e32 v4, 36, v6
	v_sub_u16_e32 v4, v5, v4
	v_and_b32_e32 v4, 0xff, v4
	v_mad_u64_u32 v[6:7], s[18:19], v2, s2, v[4:5]
	v_ashrrev_i32_e32 v7, 31, v6
	v_lshlrev_b64 v[6:7], 2, v[6:7]
	v_add_co_u32_e32 v6, vcc, v1, v6
	v_addc_co_u32_e32 v7, vcc, v3, v7, vcc
	global_load_dword v1, v[6:7], off
	v_mad_u64_u32 v[2:3], s[18:19], v2, 36, v[4:5]
	v_lshl_add_u32 v2, v2, 2, 0
	s_waitcnt vmcnt(0)
	ds_write_b32 v2, v1
.LBB5_39:
	s_or_b64 exec, exec, s[0:1]
	s_ashr_i32 s0, s3, 31
	s_mul_hi_u32 s1, s12, s3
	s_mul_i32 s0, s12, s0
	s_add_i32 s0, s1, s0
	s_mul_i32 s1, s13, s3
	s_add_i32 s0, s0, s1
	s_mul_i32 s1, s12, s3
	s_waitcnt lgkmcnt(0)
	s_add_u32 s1, s8, s1
	s_addc_u32 s0, s9, s0
	s_ashr_i32 s2, s3, 2
	v_mul_lo_u32 v2, s2, v0
	v_ashrrev_i32_e32 v3, 31, v2
	v_lshlrev_b64 v[2:3], 2, v[2:3]
	v_mov_b32_e32 v1, s0
	v_add_co_u32_e32 v8, vcc, s1, v2
	v_addc_co_u32_e32 v9, vcc, v1, v3, vcc
	s_barrier
	global_load_dword v7, v[8:9], off offset:16
	global_load_dwordx4 v[2:5], v[8:9], off
	s_cmp_eq_u64 s[10:11], 0
	v_lshlrev_b32_e32 v20, 2, v0
	s_cbranch_scc1 .LBB5_41
; %bb.40:
	s_lshl_b64 s[0:1], s[12:13], 2
	s_add_u32 s0, s10, s0
	s_addc_u32 s1, s11, s1
	global_load_dword v8, v20, s[0:1]
	s_branch .LBB5_42
.LBB5_41:
	v_mov_b32_e32 v8, 0
.LBB5_42:
	s_load_dwordx2 s[0:1], s[4:5], 0x40
	s_waitcnt lgkmcnt(0)
	s_sub_u32 s0, s0, s14
	s_subb_u32 s1, s1, s15
	v_cmp_lt_i64_e64 s[2:3], s[0:1], 1
	s_and_b64 vcc, exec, s[2:3]
	s_cbranch_vccnz .LBB5_50
; %bb.43:
	s_load_dwordx4 s[8:11], s[4:5], 0x30
	s_waitcnt vmcnt(0)
	v_mov_b32_e32 v10, v3
	v_mov_b32_e32 v11, v4
	;; [unrolled: 1-line block ×3, first 2 shown]
	s_mov_b32 s5, 0
	s_waitcnt lgkmcnt(0)
	s_ashr_i32 s2, s9, 31
	s_mul_hi_u32 s3, s14, s9
	s_mul_i32 s2, s14, s2
	s_add_i32 s2, s3, s2
	s_mul_i32 s3, s15, s9
	s_add_i32 s15, s2, s3
	s_ashr_i32 s2, s8, 31
	s_mul_hi_u32 s3, s12, s8
	s_mul_i32 s2, s12, s2
	s_mul_i32 s10, s6, s10
	s_add_i32 s2, s3, s2
	s_mul_i32 s3, s13, s8
	s_ashr_i32 s11, s10, 31
	s_add_i32 s13, s2, s3
	s_ashr_i32 s2, s9, 2
	v_cmp_lt_i64_e64 s[6:7], s[0:1], 32
	s_and_b64 s[6:7], s[6:7], exec
	s_cselect_b32 s7, s1, 0
	s_cselect_b32 s6, s0, 32
	s_mul_i32 s14, s14, s9
	s_mul_i32 s12, s12, s8
	v_cmp_gt_i64_e64 s[8:9], s[6:7], 1
	s_and_b64 s[8:9], s[8:9], exec
	s_cselect_b32 s7, s7, 0
	s_cselect_b32 s6, s6, 1
	s_cmp_eq_u64 s[0:1], 1
	s_cselect_b64 s[0:1], -1, 0
	s_cmp_lg_u32 s2, 1
	s_cselect_b64 s[8:9], -1, 0
	s_or_b64 s[0:1], s[0:1], s[8:9]
	v_mul_u32_u24_e32 v21, 36, v0
	s_and_b64 vcc, exec, s[0:1]
	s_cbranch_vccnz .LBB5_47
; %bb.44:
	s_add_u32 s0, s16, s10
	s_addc_u32 s1, s17, s11
	s_add_u32 s0, s0, s14
	v_lshl_add_u32 v23, v21, 2, 0
	s_addc_u32 s1, s1, s15
	ds_read2_b32 v[18:19], v23 offset1:1
	s_add_u32 s0, s0, s12
	s_addc_u32 s1, s1, s13
	v_mov_b32_e32 v1, s1
	v_add_co_u32_e32 v0, vcc, s0, v20
	s_and_b32 s4, s6, 62
	v_addc_co_u32_e32 v1, vcc, 0, v1, vcc
	v_mov_b32_e32 v3, v2
	v_mov_b32_e32 v4, v10
	;; [unrolled: 1-line block ×10, first 2 shown]
	s_mov_b32 s3, 0xbfb8aa3b
	s_mov_b32 s18, 0x42ce8ed0
	;; [unrolled: 1-line block ×3, first 2 shown]
	v_mov_b32_e32 v22, 0x7f800000
	s_mov_b64 s[8:9], s[4:5]
.LBB5_45:                               ; =>This Inner Loop Header: Depth=1
	s_waitcnt lgkmcnt(0)
	v_pk_fma_f32 v[24:25], v[2:3], v[18:19], 0 op_sel_hi:[1,1,0]
	ds_read2_b32 v[26:27], v23 offset0:1 offset1:2
	ds_read2_b32 v[18:19], v23 offset0:2 offset1:3
	ds_read2_b32 v[28:29], v23 offset0:3 offset1:4
	ds_read2_b32 v[30:31], v23 offset0:4 offset1:5
	v_add_u32_e32 v32, 8, v23
	s_waitcnt lgkmcnt(3)
	v_pk_fma_f32 v[24:25], v[4:5], v[26:27], v[24:25]
	s_waitcnt lgkmcnt(2)
	v_pk_fma_f32 v[24:25], v[12:13], v[18:19], v[24:25]
	;; [unrolled: 2-line block ×4, first 2 shown]
	v_pk_add_f32 v[24:25], v[8:9], v[24:25]
	v_mul_f32_e32 v26, 0xbfb8aa3b, v25
	v_mul_f32_e32 v27, 0xbfb8aa3b, v24
	v_fma_f32 v28, v25, s3, -v26
	v_rndne_f32_e32 v29, v26
	v_fma_f32 v30, v24, s3, -v27
	v_rndne_f32_e32 v31, v27
	v_fmac_f32_e32 v28, 0xb2a5705f, v25
	v_sub_f32_e32 v26, v26, v29
	v_fmac_f32_e32 v30, 0xb2a5705f, v24
	v_sub_f32_e32 v27, v27, v31
	v_add_f32_e32 v26, v26, v28
	v_add_f32_e32 v27, v27, v30
	v_cvt_i32_f32_e32 v29, v29
	v_cvt_i32_f32_e32 v31, v31
	v_exp_f32_e32 v26, v26
	v_exp_f32_e32 v27, v27
	v_cmp_nlt_f32_e32 vcc, s18, v24
	v_cmp_nlt_f32_e64 s[0:1], s18, v25
	v_ldexp_f32 v26, v26, v29
	v_ldexp_f32 v27, v27, v31
	v_cndmask_b32_e64 v26, 0, v26, s[0:1]
	v_cndmask_b32_e32 v28, 0, v27, vcc
	v_cmp_ngt_f32_e32 vcc, s19, v24
	v_cmp_ngt_f32_e64 s[0:1], s19, v25
	v_cndmask_b32_e64 v27, v22, v26, s[0:1]
	v_cndmask_b32_e32 v26, v22, v28, vcc
	v_pk_add_f32 v[26:27], v[26:27], 1.0 op_sel_hi:[1,0]
	v_div_scale_f32 v28, s[0:1], v27, v27, v25
	v_mov_b32_e32 v23, v32
	v_div_scale_f32 v30, s[0:1], v26, v26, v24
	v_rcp_f32_e32 v32, v28
	v_rcp_f32_e32 v33, v30
	v_div_scale_f32 v29, vcc, v25, v27, v25
	v_fma_f32 v34, -v28, v32, 1.0
	v_fma_f32 v35, -v30, v33, 1.0
	v_fmac_f32_e32 v32, v34, v32
	v_div_scale_f32 v31, s[0:1], v24, v26, v24
	v_fmac_f32_e32 v33, v35, v33
	v_mul_f32_e32 v34, v29, v32
	v_mul_f32_e32 v35, v31, v33
	v_fma_f32 v36, -v28, v34, v29
	v_fma_f32 v37, -v30, v35, v31
	v_fmac_f32_e32 v34, v36, v32
	v_fmac_f32_e32 v35, v37, v33
	v_fma_f32 v28, -v28, v34, v29
	v_fma_f32 v29, -v30, v35, v31
	v_div_fmas_f32 v28, v28, v32, v34
	s_mov_b64 vcc, s[0:1]
	v_div_fixup_f32 v25, v28, v27, v25
	v_div_fmas_f32 v27, v29, v33, v35
	s_add_u32 s8, s8, -2
	v_div_fixup_f32 v24, v27, v26, v24
	s_addc_u32 s9, s9, -1
	global_store_dwordx2 v[0:1], v[24:25], off
	v_add_co_u32_e32 v0, vcc, 8, v0
	s_cmp_lg_u64 s[8:9], 0
	v_addc_co_u32_e32 v1, vcc, 0, v1, vcc
	s_cbranch_scc1 .LBB5_45
; %bb.46:
	s_cmp_lg_u64 s[6:7], s[4:5]
	s_cselect_b64 s[0:1], -1, 0
	s_and_b64 vcc, exec, s[0:1]
	s_cbranch_vccnz .LBB5_48
	s_branch .LBB5_50
.LBB5_47:
	s_mov_b64 s[4:5], 0
	s_cbranch_execz .LBB5_50
.LBB5_48:
	s_ashr_i32 s3, s2, 31
	s_sub_u32 s6, s4, s6
	s_subb_u32 s7, s5, s7
	s_add_u32 s5, s12, s14
	s_mul_hi_i32 s1, s4, s2
	s_mul_i32 s0, s4, s2
	s_addc_u32 s8, s13, s15
	s_lshl_b64 s[0:1], s[0:1], 2
	s_add_u32 s0, s5, s0
	s_addc_u32 s1, s8, s1
	v_add_u32_e32 v3, s4, v21
	s_add_u32 s5, s16, s10
	v_lshl_add_u32 v12, v3, 2, 0
	s_addc_u32 s8, s17, s11
	ds_read_b32 v4, v12
	s_add_u32 s0, s5, s0
	s_addc_u32 s1, s8, s1
	v_mov_b32_e32 v1, s1
	v_add_co_u32_e32 v0, vcc, s0, v20
	s_lshl_b64 s[2:3], s[2:3], 2
	v_addc_co_u32_e32 v1, vcc, 0, v1, vcc
	s_mov_b32 s4, 0xbfb8aa3b
	s_mov_b32 s5, 0x42ce8ed0
	;; [unrolled: 1-line block ×3, first 2 shown]
	v_mov_b32_e32 v3, 0x7f800000
	v_mov_b32_e32 v9, s3
.LBB5_49:                               ; =>This Inner Loop Header: Depth=1
	s_waitcnt lgkmcnt(0)
	v_fma_f32 v13, v2, v4, 0
	ds_read2_b32 v[4:5], v12 offset0:1 offset1:2
	ds_read2_b32 v[14:15], v12 offset0:3 offset1:4
	v_add_u32_e32 v16, 4, v12
	v_mov_b32_e32 v12, v16
	s_add_u32 s6, s6, 1
	s_waitcnt lgkmcnt(1)
	v_pk_mul_f32 v[16:17], v[10:11], v[4:5]
	v_add_f32_e32 v5, v13, v16
	s_waitcnt lgkmcnt(0)
	v_pk_mul_f32 v[14:15], v[6:7], v[14:15]
	v_add_f32_e32 v5, v5, v17
	v_add_f32_e32 v5, v5, v14
	;; [unrolled: 1-line block ×4, first 2 shown]
	v_mul_f32_e32 v13, 0xbfb8aa3b, v5
	v_fma_f32 v14, v5, s4, -v13
	v_rndne_f32_e32 v15, v13
	v_fmac_f32_e32 v14, 0xb2a5705f, v5
	v_sub_f32_e32 v13, v13, v15
	v_add_f32_e32 v13, v13, v14
	v_cvt_i32_f32_e32 v15, v15
	v_exp_f32_e32 v13, v13
	v_cmp_nlt_f32_e32 vcc, s5, v5
	s_addc_u32 s7, s7, 0
	s_cmp_eq_u64 s[6:7], 0
	v_ldexp_f32 v13, v13, v15
	v_cndmask_b32_e32 v13, 0, v13, vcc
	v_cmp_ngt_f32_e32 vcc, s8, v5
	v_cndmask_b32_e32 v13, v3, v13, vcc
	v_add_f32_e32 v13, 1.0, v13
	v_div_scale_f32 v14, s[10:11], v13, v13, v5
	v_rcp_f32_e32 v16, v14
	v_div_scale_f32 v15, vcc, v5, v13, v5
	s_cselect_b64 s[0:1], -1, 0
	v_fma_f32 v17, -v14, v16, 1.0
	v_fmac_f32_e32 v16, v17, v16
	v_mul_f32_e32 v17, v15, v16
	v_fma_f32 v18, -v14, v17, v15
	v_fmac_f32_e32 v17, v18, v16
	v_fma_f32 v14, -v14, v17, v15
	v_div_fmas_f32 v14, v14, v16, v17
	v_div_fixup_f32 v5, v14, v13, v5
	s_andn2_b64 vcc, exec, s[0:1]
	global_store_dword v[0:1], v5, off
	v_add_co_u32_e64 v0, s[0:1], s2, v0
	v_addc_co_u32_e64 v1, s[0:1], v1, v9, s[0:1]
	s_cbranch_vccnz .LBB5_49
.LBB5_50:
	s_endpgm
	.section	.rodata,"a",@progbits
	.p2align	6, 0x0
	.amdhsa_kernel _ZL23ssm_conv_long_token_f32ILb1ELm128ELm5ELl32EEvPKfS1_S1_iiiiPfiiil
		.amdhsa_group_segment_fixed_size 0
		.amdhsa_private_segment_fixed_size 0
		.amdhsa_kernarg_size 72
		.amdhsa_user_sgpr_count 6
		.amdhsa_user_sgpr_private_segment_buffer 1
		.amdhsa_user_sgpr_dispatch_ptr 0
		.amdhsa_user_sgpr_queue_ptr 0
		.amdhsa_user_sgpr_kernarg_segment_ptr 1
		.amdhsa_user_sgpr_dispatch_id 0
		.amdhsa_user_sgpr_flat_scratch_init 0
		.amdhsa_user_sgpr_kernarg_preload_length 0
		.amdhsa_user_sgpr_kernarg_preload_offset 0
		.amdhsa_user_sgpr_private_segment_size 0
		.amdhsa_uses_dynamic_stack 0
		.amdhsa_system_sgpr_private_segment_wavefront_offset 0
		.amdhsa_system_sgpr_workgroup_id_x 1
		.amdhsa_system_sgpr_workgroup_id_y 1
		.amdhsa_system_sgpr_workgroup_id_z 1
		.amdhsa_system_sgpr_workgroup_info 0
		.amdhsa_system_vgpr_workitem_id 0
		.amdhsa_next_free_vgpr 64
		.amdhsa_next_free_sgpr 22
		.amdhsa_accum_offset 64
		.amdhsa_reserve_vcc 1
		.amdhsa_reserve_flat_scratch 0
		.amdhsa_float_round_mode_32 0
		.amdhsa_float_round_mode_16_64 0
		.amdhsa_float_denorm_mode_32 3
		.amdhsa_float_denorm_mode_16_64 3
		.amdhsa_dx10_clamp 1
		.amdhsa_ieee_mode 1
		.amdhsa_fp16_overflow 0
		.amdhsa_tg_split 0
		.amdhsa_exception_fp_ieee_invalid_op 0
		.amdhsa_exception_fp_denorm_src 0
		.amdhsa_exception_fp_ieee_div_zero 0
		.amdhsa_exception_fp_ieee_overflow 0
		.amdhsa_exception_fp_ieee_underflow 0
		.amdhsa_exception_fp_ieee_inexact 0
		.amdhsa_exception_int_div_zero 0
	.end_amdhsa_kernel
	.section	.text._ZL23ssm_conv_long_token_f32ILb1ELm128ELm5ELl32EEvPKfS1_S1_iiiiPfiiil,"axG",@progbits,_ZL23ssm_conv_long_token_f32ILb1ELm128ELm5ELl32EEvPKfS1_S1_iiiiPfiiil,comdat
.Lfunc_end5:
	.size	_ZL23ssm_conv_long_token_f32ILb1ELm128ELm5ELl32EEvPKfS1_S1_iiiiPfiiil, .Lfunc_end5-_ZL23ssm_conv_long_token_f32ILb1ELm128ELm5ELl32EEvPKfS1_S1_iiiiPfiiil
                                        ; -- End function
	.section	.AMDGPU.csdata,"",@progbits
; Kernel info:
; codeLenInByte = 5520
; NumSgprs: 26
; NumVgprs: 64
; NumAgprs: 0
; TotalNumVgprs: 64
; ScratchSize: 0
; MemoryBound: 0
; FloatMode: 240
; IeeeMode: 1
; LDSByteSize: 0 bytes/workgroup (compile time only)
; SGPRBlocks: 3
; VGPRBlocks: 7
; NumSGPRsForWavesPerEU: 26
; NumVGPRsForWavesPerEU: 64
; AccumOffset: 64
; Occupancy: 8
; WaveLimiterHint : 0
; COMPUTE_PGM_RSRC2:SCRATCH_EN: 0
; COMPUTE_PGM_RSRC2:USER_SGPR: 6
; COMPUTE_PGM_RSRC2:TRAP_HANDLER: 0
; COMPUTE_PGM_RSRC2:TGID_X_EN: 1
; COMPUTE_PGM_RSRC2:TGID_Y_EN: 1
; COMPUTE_PGM_RSRC2:TGID_Z_EN: 1
; COMPUTE_PGM_RSRC2:TIDIG_COMP_CNT: 0
; COMPUTE_PGM_RSRC3_GFX90A:ACCUM_OFFSET: 15
; COMPUTE_PGM_RSRC3_GFX90A:TG_SPLIT: 0
	.section	.text._ZL12ssm_conv_f32ILb1ELm128ELm9EEvPKfS1_S1_iiiiPfiiil,"axG",@progbits,_ZL12ssm_conv_f32ILb1ELm128ELm9EEvPKfS1_S1_iiiiPfiiil,comdat
	.globl	_ZL12ssm_conv_f32ILb1ELm128ELm9EEvPKfS1_S1_iiiiPfiiil ; -- Begin function _ZL12ssm_conv_f32ILb1ELm128ELm9EEvPKfS1_S1_iiiiPfiiil
	.p2align	8
	.type	_ZL12ssm_conv_f32ILb1ELm128ELm9EEvPKfS1_S1_iiiiPfiiil,@function
_ZL12ssm_conv_f32ILb1ELm128ELm9EEvPKfS1_S1_iiiiPfiiil: ; @_ZL12ssm_conv_f32ILb1ELm128ELm9EEvPKfS1_S1_iiiiPfiiil
; %bb.0:
	s_load_dwordx2 s[0:1], s[4:5], 0x10
	s_mov_b32 s8, s7
	s_ashr_i32 s9, s7, 31
	s_lshl_b64 s[18:19], s[8:9], 7
	v_lshlrev_b32_e32 v20, 2, v0
	s_waitcnt lgkmcnt(0)
	s_cmp_eq_u64 s[0:1], 0
	s_cbranch_scc1 .LBB6_2
; %bb.1:
	s_lshl_b64 s[2:3], s[18:19], 2
	s_add_u32 s0, s0, s2
	s_addc_u32 s1, s1, s3
	global_load_dword v9, v20, s[0:1]
	s_load_dwordx2 s[16:17], s[4:5], 0x40
	s_waitcnt lgkmcnt(0)
	v_cmp_lt_i64_e64 s[0:1], s[16:17], 1
	s_and_b64 vcc, exec, s[0:1]
	s_cbranch_vccz .LBB6_3
	s_branch .LBB6_6
.LBB6_2:
	v_mov_b32_e32 v9, 0
	s_load_dwordx2 s[16:17], s[4:5], 0x40
	s_waitcnt lgkmcnt(0)
	v_cmp_lt_i64_e64 s[0:1], s[16:17], 1
	s_and_b64 vcc, exec, s[0:1]
	s_cbranch_vccnz .LBB6_6
.LBB6_3:
	s_load_dwordx4 s[12:15], s[4:5], 0x1c
	s_load_dwordx4 s[0:3], s[4:5], 0x0
	v_mov_b32_e32 v1, s8
	v_alignbit_b32 v1, s9, v1, 25
	s_mov_b32 s24, 0xbfb8aa3b
	s_waitcnt lgkmcnt(0)
	s_ashr_i32 s7, s14, 31
	s_mul_hi_u32 s8, s18, s14
	s_mul_i32 s7, s18, s7
	v_mul_lo_u32 v1, v1, s14
	s_add_i32 s8, s8, s7
	s_mul_i32 s7, s18, s14
	v_add_u32_e32 v1, s8, v1
	s_ashr_i32 s8, s14, 2
	v_mul_lo_u32 v2, s8, v0
	v_mov_b32_e32 v4, s7
	v_mov_b32_e32 v5, s3
	v_ashrrev_i32_e32 v3, 31, v2
	v_add_co_u32_e32 v4, vcc, s2, v4
	v_addc_co_u32_e32 v1, vcc, v5, v1, vcc
	v_lshlrev_b64 v[2:3], 2, v[2:3]
	v_add_co_u32_e32 v24, vcc, v4, v2
	v_addc_co_u32_e32 v25, vcc, v1, v3, vcc
	global_load_dwordx4 v[10:13], v[24:25], off
	s_load_dwordx2 s[14:15], s[4:5], 0x28
	s_load_dwordx4 s[8:11], s[4:5], 0x30
	s_ashr_i32 s2, s12, 31
	s_mul_hi_u32 s3, s18, s12
	s_mul_i32 s2, s18, s2
	s_mul_i32 s7, s6, s13
	s_add_i32 s2, s3, s2
	s_mul_i32 s3, s19, s12
	s_waitcnt lgkmcnt(0)
	s_mul_i32 s4, s6, s10
	s_ashr_i32 s11, s7, 31
	s_add_i32 s13, s2, s3
	s_ashr_i32 s5, s4, 31
	s_add_u32 s2, s14, s4
	s_addc_u32 s3, s15, s5
	s_ashr_i32 s6, s8, 31
	s_mul_hi_u32 s10, s18, s8
	s_mul_i32 s6, s18, s6
	s_add_i32 s6, s10, s6
	s_mul_i32 s10, s19, s8
	s_add_i32 s6, s6, s10
	s_mul_i32 s8, s18, s8
	s_add_u32 s2, s2, s8
	s_addc_u32 s3, s3, s6
	s_add_u32 s10, s0, s7
	s_mul_i32 s20, s18, s12
	s_addc_u32 s18, s1, s11
	s_add_u32 s10, s10, s20
	s_addc_u32 s18, s18, s13
	s_ashr_i32 s12, s12, 2
	v_mul_lo_u32 v0, s12, v0
	v_ashrrev_i32_e32 v1, 31, v0
	v_lshlrev_b64 v[18:19], 2, v[0:1]
	v_mov_b32_e32 v0, s18
	v_add_co_u32_e32 v26, vcc, s10, v18
	v_addc_co_u32_e32 v27, vcc, v0, v19, vcc
	global_load_dwordx4 v[0:3], v[26:27], off
	global_load_dwordx4 v[14:17], v[24:25], off offset:16
	global_load_dwordx4 v[4:7], v[26:27], off offset:16
	global_load_dword v22, v[24:25], off offset:32
	global_load_dword v8, v[26:27], off offset:32
	s_mov_b32 s25, 0x42ce8ed0
	s_mov_b32 s26, 0xc2b17218
	s_cmp_eq_u64 s[16:17], 1
	s_waitcnt vmcnt(4)
	v_fma_f32 v21, v10, v0, 0
	v_fmac_f32_e32 v21, v11, v1
	v_fmac_f32_e32 v21, v12, v2
	;; [unrolled: 1-line block ×3, first 2 shown]
	s_waitcnt vmcnt(2)
	v_fmac_f32_e32 v21, v14, v4
	v_fmac_f32_e32 v21, v15, v5
	;; [unrolled: 1-line block ×4, first 2 shown]
	s_waitcnt vmcnt(0)
	v_fmac_f32_e32 v21, v22, v8
	v_add_f32_e32 v21, v9, v21
	v_mul_f32_e32 v23, 0xbfb8aa3b, v21
	v_fma_f32 v24, v21, s24, -v23
	v_rndne_f32_e32 v25, v23
	v_fmac_f32_e32 v24, 0xb2a5705f, v21
	v_sub_f32_e32 v23, v23, v25
	v_add_f32_e32 v23, v23, v24
	v_cvt_i32_f32_e32 v25, v25
	v_exp_f32_e32 v24, v23
	v_cmp_nlt_f32_e32 vcc, s25, v21
	v_mov_b32_e32 v23, 0x7f800000
	v_ldexp_f32 v24, v24, v25
	v_cndmask_b32_e32 v24, 0, v24, vcc
	v_cmp_ngt_f32_e32 vcc, s26, v21
	v_cndmask_b32_e32 v24, v23, v24, vcc
	v_add_f32_e32 v24, 1.0, v24
	v_div_scale_f32 v25, s[18:19], v24, v24, v21
	v_rcp_f32_e32 v26, v25
	v_div_scale_f32 v27, vcc, v21, v24, v21
	v_fma_f32 v28, -v25, v26, 1.0
	v_fmac_f32_e32 v26, v28, v26
	v_mul_f32_e32 v28, v27, v26
	v_fma_f32 v29, -v25, v28, v27
	v_fmac_f32_e32 v28, v29, v26
	v_fma_f32 v25, -v25, v28, v27
	v_div_fmas_f32 v25, v25, v26, v28
	v_div_fixup_f32 v21, v25, v24, v21
	global_store_dword v20, v21, s[2:3]
	s_cbranch_scc1 .LBB6_6
; %bb.4:
	s_ashr_i32 s2, s9, 2
	s_ashr_i32 s3, s2, 31
	s_add_u32 s0, s0, s7
	s_addc_u32 s1, s1, s11
	s_add_u32 s0, s0, s20
	s_addc_u32 s1, s1, s13
	v_add_co_u32_e32 v18, vcc, s0, v18
	s_add_u32 s0, s16, -1
	v_mov_b32_e32 v21, s1
	s_addc_u32 s1, s17, -1
	s_lshl_b64 s[2:3], s[2:3], 2
	s_add_u32 s7, s8, s2
	s_addc_u32 s6, s6, s3
	s_add_u32 s4, s14, s4
	v_addc_co_u32_e32 v19, vcc, v21, v19, vcc
	s_addc_u32 s5, s15, s5
	v_add_co_u32_e32 v18, vcc, 36, v18
	s_add_u32 s4, s4, s7
	v_addc_co_u32_e32 v19, vcc, 0, v19, vcc
	s_addc_u32 s5, s5, s6
	v_mov_b32_e32 v21, s5
	v_add_co_u32_e32 v20, vcc, s4, v20
	v_addc_co_u32_e32 v21, vcc, 0, v21, vcc
	s_mov_b64 s[4:5], 1
	s_mov_b64 s[6:7], 0
	;; [unrolled: 1-line block ×10, first 2 shown]
	v_mov_b32_e32 v24, s3
.LBB6_5:                                ; =>This Inner Loop Header: Depth=1
	s_add_u32 s3, 0, 0x71c4fc00
	s_addc_u32 s27, 0, 0x7c
	s_mul_hi_u32 s29, s3, -9
	s_add_i32 s27, s27, 0x1c71c6a0
	s_sub_i32 s29, s29, s3
	s_mul_i32 s33, s27, -9
	s_mul_i32 s28, s3, -9
	s_add_i32 s29, s29, s33
	s_mul_hi_u32 s30, s3, s28
	s_mul_i32 s34, s3, s29
	s_mul_hi_u32 s33, s3, s29
	s_add_u32 s30, s30, s34
	s_mul_hi_u32 s31, s27, s28
	s_mul_i32 s28, s27, s28
	s_addc_u32 s33, 0, s33
	s_add_u32 s28, s30, s28
	s_mul_hi_u32 s35, s27, s29
	s_addc_u32 s28, s33, s31
	s_mul_i32 s29, s27, s29
	s_addc_u32 s30, s35, 0
	global_load_dword v25, v[18:19], off
	v_add_co_u32_e32 v18, vcc, 4, v18
	s_add_u32 s28, s28, s29
	v_addc_co_u32_e32 v19, vcc, 0, v19, vcc
	v_mov_b32_e32 v26, s28
	s_addc_u32 s29, 0, s30
	v_add_co_u32_e32 v26, vcc, s3, v26
	s_cmp_lg_u64 vcc, 0
	v_readfirstlane_b32 s40, v26
	s_addc_u32 s39, s27, s29
	s_mul_hi_u32 s45, s4, s40
	s_mul_i32 s59, s4, s39
	s_mul_hi_u32 s46, s5, s40
	s_mul_i32 s47, s5, s40
	s_mul_hi_u32 s50, s8, s40
	s_mul_hi_u32 s51, s9, s40
	s_mul_i32 s52, s9, s40
	s_mul_hi_u32 s53, s10, s40
	;; [unrolled: 3-line block ×10, first 2 shown]
	s_add_u32 s45, s45, s59
	s_addc_u32 s40, 0, s40
	s_add_u32 s45, s45, s47
	s_mul_hi_u32 s60, s5, s39
	s_addc_u32 s40, s40, s46
	s_mul_i32 s61, s5, s39
	s_addc_u32 s45, s60, 0
	s_add_u32 s40, s40, s61
	s_addc_u32 s45, 0, s45
	s_mul_i32 s47, s40, 9
	s_mul_hi_u32 s46, s40, 9
	s_mul_i32 s45, s45, 9
	v_mov_b32_e32 v26, s47
	s_add_i32 s46, s46, s45
	v_sub_co_u32_e32 v26, vcc, s4, v26
	s_cmp_lg_u64 vcc, 0
	v_subrev_co_u32_e32 v27, vcc, 9, v26
	s_subb_u32 s45, s5, s46
	s_cmp_lg_u64 vcc, 0
	v_readfirstlane_b32 s46, v27
	s_subb_u32 s47, s45, 0
	s_cmp_gt_u32 s46, 8
	s_cselect_b32 s46, -1, 0
	s_cmp_eq_u32 s47, 0
	s_cselect_b32 s46, s46, -1
	s_add_i32 s47, s40, 1
	s_add_i32 s60, s40, 2
	s_cmp_lg_u32 s46, 0
	s_cselect_b32 s46, s60, s47
	v_readfirstlane_b32 s47, v26
	s_cmp_gt_u32 s47, 8
	s_cselect_b32 s47, -1, 0
	s_cmp_eq_u32 s45, 0
	s_cselect_b32 s45, s47, -1
	s_mul_i32 s63, s8, s39
	s_cmp_lg_u32 s45, 0
	s_mul_hi_u32 s62, s8, s39
	s_cselect_b32 s45, s46, s40
	s_add_u32 s40, s50, s63
	s_addc_u32 s46, 0, s62
	s_add_u32 s40, s40, s52
	s_mul_hi_u32 s64, s9, s39
	s_addc_u32 s40, s46, s51
	s_mul_i32 s65, s9, s39
	s_addc_u32 s46, s64, 0
	s_add_u32 s40, s40, s65
	s_addc_u32 s46, 0, s46
	s_mul_i32 s50, s40, 9
	s_mul_hi_u32 s47, s40, 9
	s_mul_i32 s46, s46, 9
	v_mov_b32_e32 v26, s50
	s_add_i32 s47, s47, s46
	v_sub_co_u32_e32 v26, vcc, s8, v26
	s_cmp_lg_u64 vcc, 0
	v_subrev_co_u32_e32 v27, vcc, 9, v26
	s_subb_u32 s46, s9, s47
	s_cmp_lg_u64 vcc, 0
	v_readfirstlane_b32 s47, v27
	s_subb_u32 s50, s46, 0
	s_cmp_gt_u32 s47, 8
	s_cselect_b32 s47, -1, 0
	s_cmp_eq_u32 s50, 0
	s_cselect_b32 s47, s47, -1
	s_add_i32 s50, s40, 1
	s_add_i32 s51, s40, 2
	s_cmp_lg_u32 s47, 0
	s_cselect_b32 s47, s51, s50
	v_readfirstlane_b32 s50, v26
	s_cmp_gt_u32 s50, 8
	s_cselect_b32 s50, -1, 0
	s_cmp_eq_u32 s46, 0
	s_cselect_b32 s46, s50, -1
	s_mul_i32 s67, s10, s39
	s_cmp_lg_u32 s46, 0
	s_mul_hi_u32 s66, s10, s39
	s_cselect_b32 s40, s47, s40
	;; [unrolled: 38-line block ×3, first 2 shown]
	s_add_u32 s47, s56, s71
	s_addc_u32 s56, 0, s70
	s_add_u32 s47, s47, s58
	s_mul_hi_u32 s72, s13, s39
	s_addc_u32 s56, s56, s57
	s_mul_i32 s73, s13, s39
	s_addc_u32 s57, s72, 0
	s_add_u32 s56, s56, s73
	s_addc_u32 s57, 0, s57
	s_mul_i32 s69, s56, 9
	s_mul_hi_u32 s58, s56, 9
	s_mul_i32 s57, s57, 9
	v_mov_b32_e32 v26, s69
	s_add_i32 s58, s58, s57
	v_sub_co_u32_e32 v26, vcc, s12, v26
	s_cmp_lg_u64 vcc, 0
	v_subrev_co_u32_e32 v27, vcc, 9, v26
	s_subb_u32 s57, s13, s58
	s_cmp_lg_u64 vcc, 0
	v_readfirstlane_b32 s58, v27
	s_subb_u32 s69, s57, 0
	s_cmp_gt_u32 s58, 8
	s_cselect_b32 s58, -1, 0
	s_cmp_eq_u32 s69, 0
	s_cselect_b32 s58, s58, -1
	s_add_i32 s69, s56, 1
	s_add_i32 s70, s56, 2
	s_cmp_lg_u32 s58, 0
	s_mul_hi_u32 s74, s14, s39
	s_mul_i32 s75, s14, s39
	s_mul_hi_u32 s59, s15, s39
	s_mul_i32 s76, s15, s39
	s_mul_hi_u32 s61, s16, s39
	s_mul_i32 s60, s16, s39
	s_mul_hi_u32 s77, s17, s39
	s_mul_i32 s78, s17, s39
	s_mul_hi_u32 s63, s18, s39
	s_mul_i32 s52, s18, s39
	s_mul_hi_u32 s62, s19, s39
	s_mul_i32 s51, s19, s39
	s_mul_hi_u32 s64, s20, s39
	s_mul_i32 s65, s20, s39
	s_mul_hi_u32 s53, s21, s39
	s_mul_i32 s55, s21, s39
	s_mul_hi_u32 s50, s22, s39
	s_mul_i32 s67, s22, s39
	s_mul_hi_u32 s66, s23, s39
	s_mul_i32 s68, s23, s39
	s_mul_hi_u32 s46, s6, s39
	s_mul_i32 s47, s6, s39
	s_mul_hi_u32 s58, s7, s39
	s_mul_i32 s71, s7, s39
	s_mul_i32 s39, s40, 9
	s_mul_i32 s40, s54, 9
	s_cselect_b32 s54, s70, s69
	v_readfirstlane_b32 s69, v26
	s_cmp_gt_u32 s69, 8
	s_cselect_b32 s69, -1, 0
	s_cmp_eq_u32 s57, 0
	s_cselect_b32 s57, s69, -1
	s_cmp_lg_u32 s57, 0
	s_cselect_b32 s54, s54, s56
	s_add_u32 s56, s44, s75
	s_mul_i32 s44, s54, 9
	s_addc_u32 s54, 0, s74
	s_add_u32 s49, s56, s49
	s_addc_u32 s48, s54, s48
	s_addc_u32 s49, s59, 0
	s_add_u32 s48, s48, s76
	s_addc_u32 s49, 0, s49
	s_mul_i32 s56, s48, 9
	s_mul_hi_u32 s54, s48, 9
	s_mul_i32 s49, s49, 9
	v_mov_b32_e32 v26, s56
	s_add_i32 s54, s54, s49
	v_sub_co_u32_e32 v26, vcc, s14, v26
	s_cmp_lg_u64 vcc, 0
	v_subrev_co_u32_e32 v27, vcc, 9, v26
	s_subb_u32 s54, s15, s54
	s_cmp_lg_u64 vcc, 0
	v_readfirstlane_b32 s56, v27
	s_subb_u32 s57, s54, 0
	s_cmp_gt_u32 s56, 8
	s_cselect_b32 s56, -1, 0
	s_cmp_eq_u32 s57, 0
	s_cselect_b32 s56, s56, -1
	s_add_i32 s57, s48, 1
	s_add_i32 s59, s48, 2
	v_readfirstlane_b32 s49, v26
	s_cmp_lg_u32 s56, 0
	s_cselect_b32 s56, s59, s57
	s_cmp_gt_u32 s49, 8
	s_cselect_b32 s49, -1, 0
	s_cmp_eq_u32 s54, 0
	s_cselect_b32 s49, s49, -1
	s_cmp_lg_u32 s49, 0
	s_cselect_b32 s48, s56, s48
	s_add_u32 s43, s43, s60
	s_addc_u32 s49, 0, s61
	s_add_u32 s42, s43, s42
	s_addc_u32 s41, s49, s41
	s_addc_u32 s42, s77, 0
	s_add_u32 s41, s41, s78
	s_addc_u32 s42, 0, s42
	s_mul_i32 s49, s41, 9
	s_mul_hi_u32 s43, s41, 9
	s_mul_i32 s42, s42, 9
	v_mov_b32_e32 v26, s49
	s_add_i32 s43, s43, s42
	v_sub_co_u32_e32 v26, vcc, s16, v26
	s_cmp_lg_u64 vcc, 0
	v_subrev_co_u32_e32 v27, vcc, 9, v26
	s_subb_u32 s43, s17, s43
	s_cmp_lg_u64 vcc, 0
	v_readfirstlane_b32 s49, v27
	s_subb_u32 s54, s43, 0
	s_cmp_gt_u32 s49, 8
	s_cselect_b32 s49, -1, 0
	s_cmp_eq_u32 s54, 0
	s_cselect_b32 s49, s49, -1
	s_add_i32 s54, s41, 1
	s_add_i32 s56, s41, 2
	v_readfirstlane_b32 s42, v26
	s_cmp_lg_u32 s49, 0
	s_cselect_b32 s49, s56, s54
	s_cmp_gt_u32 s42, 8
	s_cselect_b32 s42, -1, 0
	s_cmp_eq_u32 s43, 0
	s_cselect_b32 s42, s42, -1
	s_cmp_lg_u32 s42, 0
	s_cselect_b32 s41, s49, s41
	s_add_u32 s38, s38, s52
	;; [unrolled: 34-line block ×5, first 2 shown]
	s_addc_u32 s30, 0, s46
	s_add_u32 s27, s28, s27
	s_addc_u32 s3, s30, s3
	s_addc_u32 s27, s58, 0
	s_add_u32 s3, s3, s71
	s_addc_u32 s27, 0, s27
	s_mul_i32 s30, s3, 9
	s_mul_hi_u32 s28, s3, 9
	s_mul_i32 s27, s27, 9
	v_mov_b32_e32 v26, s30
	s_add_i32 s28, s28, s27
	v_sub_co_u32_e32 v26, vcc, s6, v26
	s_cmp_lg_u64 vcc, 0
	v_subrev_co_u32_e32 v27, vcc, 9, v26
	s_subb_u32 s28, s7, s28
	s_cmp_lg_u64 vcc, 0
	v_readfirstlane_b32 s30, v27
	s_subb_u32 s31, s28, 0
	s_cmp_gt_u32 s30, 8
	s_cselect_b32 s30, -1, 0
	s_cmp_eq_u32 s31, 0
	s_cselect_b32 s30, s30, -1
	s_add_i32 s31, s3, 1
	s_add_i32 s34, s3, 2
	v_readfirstlane_b32 s27, v26
	s_cmp_lg_u32 s30, 0
	s_cselect_b32 s30, s34, s31
	s_cmp_gt_u32 s27, 8
	s_cselect_b32 s27, -1, 0
	s_cmp_eq_u32 s28, 0
	s_cselect_b32 s27, s27, -1
	s_cmp_lg_u32 s27, 0
	s_mul_i32 s45, s45, 9
	s_cselect_b32 s3, s30, s3
	s_sub_i32 s27, s6, s45
	s_mul_i32 s3, s3, -9
	s_add_i32 s27, s27, 1
	s_add_i32 s3, s6, s3
	s_mul_i32 s29, s29, 9
	s_add_u32 s4, s4, 1
	s_mul_i32 s33, s33, 9
	s_waitcnt vmcnt(0)
	s_set_gpr_idx_on s3, gpr_idx(DST)
	v_mov_b32_e32 v0, v25
	s_set_gpr_idx_off
	s_addc_u32 s5, s5, 0
	s_sub_i32 s3, s6, s29
	s_mul_i32 s36, s36, 9
	s_set_gpr_idx_on s27, gpr_idx(SRC0)
	v_mov_b32_e32 v25, v0
	s_set_gpr_idx_off
	s_sub_i32 s27, s6, s33
	s_add_i32 s3, s3, 2
	s_mul_i32 s41, s41, 9
	s_sub_i32 s28, s6, s36
	v_fma_f32 v25, v10, v25, 0
	s_add_i32 s27, s27, 3
	s_set_gpr_idx_on s3, gpr_idx(SRC0)
	v_mov_b32_e32 v26, v0
	s_set_gpr_idx_off
	s_mul_i32 s48, s48, 9
	s_sub_i32 s29, s6, s41
	s_add_i32 s28, s28, 4
	v_fmac_f32_e32 v25, v11, v26
	s_set_gpr_idx_on s27, gpr_idx(SRC0)
	v_mov_b32_e32 v26, v0
	s_set_gpr_idx_off
	s_sub_i32 s30, s6, s48
	s_add_i32 s29, s29, 5
	v_fmac_f32_e32 v25, v12, v26
	s_set_gpr_idx_on s28, gpr_idx(SRC0)
	v_mov_b32_e32 v26, v0
	s_set_gpr_idx_off
	;; [unrolled: 6-line block ×5, first 2 shown]
	s_add_i32 s34, s34, 9
	v_fmac_f32_e32 v25, v16, v26
	s_set_gpr_idx_on s33, gpr_idx(SRC0)
	v_mov_b32_e32 v26, v0
	s_set_gpr_idx_off
	v_fmac_f32_e32 v25, v17, v26
	s_set_gpr_idx_on s34, gpr_idx(SRC0)
	v_mov_b32_e32 v26, v0
	s_set_gpr_idx_off
	v_fmac_f32_e32 v25, v22, v26
	v_add_f32_e32 v25, v9, v25
	v_mul_f32_e32 v26, 0xbfb8aa3b, v25
	v_fma_f32 v27, v25, s24, -v26
	v_rndne_f32_e32 v28, v26
	v_fmac_f32_e32 v27, 0xb2a5705f, v25
	v_sub_f32_e32 v26, v26, v28
	v_add_f32_e32 v26, v26, v27
	v_cvt_i32_f32_e32 v28, v28
	v_exp_f32_e32 v26, v26
	s_add_u32 s6, s6, 1
	v_cmp_nlt_f32_e32 vcc, s25, v25
	s_addc_u32 s7, s7, 0
	v_ldexp_f32 v26, v26, v28
	v_cndmask_b32_e32 v26, 0, v26, vcc
	v_cmp_ngt_f32_e32 vcc, s26, v25
	s_add_u32 s8, s8, 1
	v_cndmask_b32_e32 v26, v23, v26, vcc
	s_addc_u32 s9, s9, 0
	v_add_f32_e32 v26, 1.0, v26
	s_add_u32 s10, s10, 1
	v_div_scale_f32 v27, s[28:29], v26, v26, v25
	s_addc_u32 s11, s11, 0
	v_rcp_f32_e32 v29, v27
	s_add_u32 s12, s12, 1
	s_addc_u32 s13, s13, 0
	s_add_u32 s14, s14, 1
	s_addc_u32 s15, s15, 0
	v_fma_f32 v30, -v27, v29, 1.0
	s_add_u32 s16, s16, 1
	v_div_scale_f32 v28, vcc, v25, v26, v25
	v_fmac_f32_e32 v29, v30, v29
	s_addc_u32 s17, s17, 0
	v_mul_f32_e32 v30, v28, v29
	s_add_u32 s18, s18, 1
	v_fma_f32 v31, -v27, v30, v28
	s_addc_u32 s19, s19, 0
	v_fmac_f32_e32 v30, v31, v29
	s_add_u32 s20, s20, 1
	v_fma_f32 v27, -v27, v30, v28
	s_addc_u32 s21, s21, 0
	v_div_fmas_f32 v27, v27, v29, v30
	s_add_u32 s22, s22, 1
	v_div_fixup_f32 v25, v27, v26, v25
	s_addc_u32 s23, s23, 0
	global_store_dword v[20:21], v25, off
	v_add_co_u32_e32 v20, vcc, s2, v20
	s_cmp_eq_u64 s[0:1], s[6:7]
	v_addc_co_u32_e32 v21, vcc, v21, v24, vcc
	s_cbranch_scc0 .LBB6_5
.LBB6_6:
	s_endpgm
	.section	.rodata,"a",@progbits
	.p2align	6, 0x0
	.amdhsa_kernel _ZL12ssm_conv_f32ILb1ELm128ELm9EEvPKfS1_S1_iiiiPfiiil
		.amdhsa_group_segment_fixed_size 0
		.amdhsa_private_segment_fixed_size 0
		.amdhsa_kernarg_size 72
		.amdhsa_user_sgpr_count 6
		.amdhsa_user_sgpr_private_segment_buffer 1
		.amdhsa_user_sgpr_dispatch_ptr 0
		.amdhsa_user_sgpr_queue_ptr 0
		.amdhsa_user_sgpr_kernarg_segment_ptr 1
		.amdhsa_user_sgpr_dispatch_id 0
		.amdhsa_user_sgpr_flat_scratch_init 0
		.amdhsa_user_sgpr_kernarg_preload_length 0
		.amdhsa_user_sgpr_kernarg_preload_offset 0
		.amdhsa_user_sgpr_private_segment_size 0
		.amdhsa_uses_dynamic_stack 0
		.amdhsa_system_sgpr_private_segment_wavefront_offset 0
		.amdhsa_system_sgpr_workgroup_id_x 1
		.amdhsa_system_sgpr_workgroup_id_y 1
		.amdhsa_system_sgpr_workgroup_id_z 0
		.amdhsa_system_sgpr_workgroup_info 0
		.amdhsa_system_vgpr_workitem_id 0
		.amdhsa_next_free_vgpr 32
		.amdhsa_next_free_sgpr 79
		.amdhsa_accum_offset 32
		.amdhsa_reserve_vcc 1
		.amdhsa_reserve_flat_scratch 0
		.amdhsa_float_round_mode_32 0
		.amdhsa_float_round_mode_16_64 0
		.amdhsa_float_denorm_mode_32 3
		.amdhsa_float_denorm_mode_16_64 3
		.amdhsa_dx10_clamp 1
		.amdhsa_ieee_mode 1
		.amdhsa_fp16_overflow 0
		.amdhsa_tg_split 0
		.amdhsa_exception_fp_ieee_invalid_op 0
		.amdhsa_exception_fp_denorm_src 0
		.amdhsa_exception_fp_ieee_div_zero 0
		.amdhsa_exception_fp_ieee_overflow 0
		.amdhsa_exception_fp_ieee_underflow 0
		.amdhsa_exception_fp_ieee_inexact 0
		.amdhsa_exception_int_div_zero 0
	.end_amdhsa_kernel
	.section	.text._ZL12ssm_conv_f32ILb1ELm128ELm9EEvPKfS1_S1_iiiiPfiiil,"axG",@progbits,_ZL12ssm_conv_f32ILb1ELm128ELm9EEvPKfS1_S1_iiiiPfiiil,comdat
.Lfunc_end6:
	.size	_ZL12ssm_conv_f32ILb1ELm128ELm9EEvPKfS1_S1_iiiiPfiiil, .Lfunc_end6-_ZL12ssm_conv_f32ILb1ELm128ELm9EEvPKfS1_S1_iiiiPfiiil
                                        ; -- End function
	.section	.AMDGPU.csdata,"",@progbits
; Kernel info:
; codeLenInByte = 3136
; NumSgprs: 83
; NumVgprs: 32
; NumAgprs: 0
; TotalNumVgprs: 32
; ScratchSize: 0
; MemoryBound: 0
; FloatMode: 240
; IeeeMode: 1
; LDSByteSize: 0 bytes/workgroup (compile time only)
; SGPRBlocks: 10
; VGPRBlocks: 3
; NumSGPRsForWavesPerEU: 83
; NumVGPRsForWavesPerEU: 32
; AccumOffset: 32
; Occupancy: 8
; WaveLimiterHint : 0
; COMPUTE_PGM_RSRC2:SCRATCH_EN: 0
; COMPUTE_PGM_RSRC2:USER_SGPR: 6
; COMPUTE_PGM_RSRC2:TRAP_HANDLER: 0
; COMPUTE_PGM_RSRC2:TGID_X_EN: 1
; COMPUTE_PGM_RSRC2:TGID_Y_EN: 1
; COMPUTE_PGM_RSRC2:TGID_Z_EN: 0
; COMPUTE_PGM_RSRC2:TIDIG_COMP_CNT: 0
; COMPUTE_PGM_RSRC3_GFX90A:ACCUM_OFFSET: 7
; COMPUTE_PGM_RSRC3_GFX90A:TG_SPLIT: 0
	.section	.text._ZL23ssm_conv_long_token_f32ILb1ELm128ELm9ELl32EEvPKfS1_S1_iiiiPfiiil,"axG",@progbits,_ZL23ssm_conv_long_token_f32ILb1ELm128ELm9ELl32EEvPKfS1_S1_iiiiPfiiil,comdat
	.globl	_ZL23ssm_conv_long_token_f32ILb1ELm128ELm9ELl32EEvPKfS1_S1_iiiiPfiiil ; -- Begin function _ZL23ssm_conv_long_token_f32ILb1ELm128ELm9ELl32EEvPKfS1_S1_iiiiPfiiil
	.p2align	8
	.type	_ZL23ssm_conv_long_token_f32ILb1ELm128ELm9ELl32EEvPKfS1_S1_iiiiPfiiil,@function
_ZL23ssm_conv_long_token_f32ILb1ELm128ELm9ELl32EEvPKfS1_S1_iiiiPfiiil: ; @_ZL23ssm_conv_long_token_f32ILb1ELm128ELm9ELl32EEvPKfS1_S1_iiiiPfiiil
; %bb.0:
	s_load_dwordx4 s[0:3], s[4:5], 0x18
	s_load_dwordx2 s[12:13], s[4:5], 0x0
	s_mov_b32 s10, s7
	v_mov_b32_e32 v1, s10
	s_waitcnt lgkmcnt(0)
	s_mul_i32 s2, s6, s2
	s_ashr_i32 s7, s2, 31
	s_add_u32 s2, s12, s2
	s_addc_u32 s7, s13, s7
	s_ashr_i32 s11, s10, 31
	s_lshl_b64 s[12:13], s[10:11], 7
	s_ashr_i32 s9, s1, 31
	s_mul_i32 s9, s12, s9
	s_mul_hi_u32 s10, s12, s1
	v_alignbit_b32 v1, s11, v1, 25
	s_add_i32 s10, s10, s9
	s_mul_i32 s9, s12, s1
	v_mul_lo_u32 v1, v1, s1
	v_mov_b32_e32 v2, s9
	v_add_u32_e32 v1, s10, v1
	v_mov_b32_e32 v3, s7
	v_add_co_u32_e32 v2, vcc, s2, v2
	s_ashr_i32 s9, s8, 31
	v_addc_co_u32_e32 v3, vcc, v3, v1, vcc
	s_lshl_b64 s[14:15], s[8:9], 5
	s_ashr_i32 s2, s0, 31
	v_mov_b32_e32 v1, s8
	v_alignbit_b32 v1, s9, v1, 27
	s_mul_i32 s2, s14, s2
	s_mul_hi_u32 s7, s14, s0
	v_mul_lo_u32 v1, v1, s0
	s_add_i32 s7, s7, s2
	s_mul_i32 s0, s14, s0
	v_add_u32_e32 v4, s7, v1
	v_add_co_u32_e32 v1, vcc, s0, v2
	v_mul_u32_u24_e32 v2, 0x667, v0
	v_lshrrev_b32_e32 v13, 16, v2
	v_mul_lo_u16_e32 v2, 40, v13
	v_addc_co_u32_e32 v3, vcc, v3, v4, vcc
	s_ashr_i32 s2, s1, 2
	v_sub_u16_e32 v2, v0, v2
	v_mad_u64_u32 v[4:5], s[0:1], s2, v13, v[2:3]
	v_ashrrev_i32_e32 v5, 31, v4
	v_lshlrev_b64 v[4:5], 2, v[4:5]
	v_add_co_u32_e32 v4, vcc, v1, v4
	v_addc_co_u32_e32 v5, vcc, v3, v5, vcc
	global_load_dword v5, v[4:5], off
	v_or_b32_e32 v4, 0x80, v2
	v_mul_lo_u16_e32 v6, 0xcd, v4
	v_lshrrev_b16_e32 v6, 13, v6
	v_add_u32_e32 v17, v13, v6
	v_mul_lo_u16_e32 v6, 40, v6
	v_sub_u16_e32 v4, v4, v6
	v_and_b32_e32 v4, 0xff, v4
	v_mad_u32_u24 v2, v13, 40, v2
	v_lshl_add_u32 v2, v2, 2, 0
	s_movk_i32 s7, 0x80
	s_waitcnt vmcnt(0)
	v_mad_u64_u32 v[6:7], s[0:1], v17, s2, v[4:5]
	v_ashrrev_i32_e32 v7, 31, v6
	v_lshlrev_b64 v[6:7], 2, v[6:7]
	v_add_co_u32_e32 v8, vcc, v1, v6
	v_or_b32_e32 v6, 0x80, v4
	v_addc_co_u32_e32 v9, vcc, v3, v7, vcc
	v_mul_lo_u16_e32 v7, 0xcd, v6
	v_lshrrev_b16_e32 v7, 13, v7
	v_add_u32_e32 v21, v17, v7
	v_mul_lo_u16_e32 v7, 40, v7
	v_sub_u16_e32 v6, v6, v7
	v_and_b32_e32 v6, 0xff, v6
	v_mad_u64_u32 v[10:11], s[0:1], v21, s2, v[6:7]
	v_or_b32_e32 v7, 0x80, v6
	v_mul_lo_u16_e32 v12, 0xcd, v7
	v_lshrrev_b16_e32 v12, 13, v12
	v_add_u32_e32 v25, v21, v12
	v_mul_lo_u16_e32 v12, 40, v12
	v_sub_u16_e32 v7, v7, v12
	v_and_b32_e32 v12, 0xff, v7
	v_or_b32_e32 v7, 0x80, v12
	v_mul_lo_u16_e32 v16, 0xcd, v7
	v_lshrrev_b16_e32 v16, 13, v16
	v_add_u32_e32 v28, v25, v16
	v_mul_lo_u16_e32 v16, 40, v16
	v_sub_u16_e32 v7, v7, v16
	v_and_b32_e32 v16, 0xff, v7
	v_or_b32_e32 v7, 0x80, v16
	v_mul_lo_u16_e32 v20, 0xcd, v7
	v_lshrrev_b16_e32 v20, 13, v20
	v_add_u32_e32 v29, v28, v20
	v_mul_lo_u16_e32 v20, 40, v20
	v_sub_u16_e32 v7, v7, v20
	v_ashrrev_i32_e32 v11, 31, v10
	v_and_b32_e32 v20, 0xff, v7
	v_lshlrev_b64 v[10:11], 2, v[10:11]
	v_mad_u64_u32 v[14:15], s[0:1], v25, s2, v[12:13]
	v_or_b32_e32 v7, 0x80, v20
	v_add_co_u32_e32 v10, vcc, v1, v10
	v_ashrrev_i32_e32 v15, 31, v14
	v_mul_lo_u16_e32 v24, 0xcd, v7
	v_addc_co_u32_e32 v11, vcc, v3, v11, vcc
	v_lshlrev_b64 v[14:15], 2, v[14:15]
	v_mad_u64_u32 v[18:19], s[0:1], v28, s2, v[16:17]
	v_lshrrev_b16_e32 v24, 13, v24
	v_add_co_u32_e32 v14, vcc, v1, v14
	v_ashrrev_i32_e32 v19, 31, v18
	v_add_u32_e32 v30, v29, v24
	v_mul_lo_u16_e32 v24, 40, v24
	v_addc_co_u32_e32 v15, vcc, v3, v15, vcc
	v_lshlrev_b64 v[18:19], 2, v[18:19]
	v_mad_u64_u32 v[22:23], s[0:1], v29, s2, v[20:21]
	v_sub_u16_e32 v7, v7, v24
	v_add_co_u32_e32 v18, vcc, v1, v18
	v_ashrrev_i32_e32 v23, 31, v22
	v_and_b32_e32 v24, 0xff, v7
	v_addc_co_u32_e32 v19, vcc, v3, v19, vcc
	v_lshlrev_b64 v[22:23], 2, v[22:23]
	v_mad_u64_u32 v[26:27], s[0:1], v30, s2, v[24:25]
	v_add_co_u32_e32 v22, vcc, v1, v22
	v_ashrrev_i32_e32 v27, 31, v26
	v_addc_co_u32_e32 v23, vcc, v3, v23, vcc
	v_lshlrev_b64 v[26:27], 2, v[26:27]
	v_add_co_u32_e32 v26, vcc, v1, v26
	v_addc_co_u32_e32 v27, vcc, v3, v27, vcc
	global_load_dword v7, v[8:9], off
	global_load_dword v31, v[10:11], off
	global_load_dword v32, v[14:15], off
	global_load_dword v33, v[18:19], off
	global_load_dword v34, v[22:23], off
	global_load_dword v35, v[26:27], off
	v_or_b32_e32 v8, 0x80, v24
	v_mul_lo_u16_e32 v9, 0xcd, v8
	v_lshrrev_b16_e32 v9, 13, v9
	v_add_u32_e32 v14, v30, v9
	v_mul_lo_u16_e32 v9, 40, v9
	v_sub_u16_e32 v8, v8, v9
	v_and_b32_e32 v8, 0xff, v8
	v_mad_u64_u32 v[10:11], s[0:1], v14, s2, v[8:9]
	v_ashrrev_i32_e32 v11, 31, v10
	v_lshlrev_b64 v[10:11], 2, v[10:11]
	v_add_co_u32_e32 v10, vcc, v1, v10
	v_addc_co_u32_e32 v11, vcc, v3, v11, vcc
	global_load_dword v9, v[10:11], off
	ds_write_b32 v2, v5
	v_mad_u32_u24 v2, v17, 40, v4
	v_lshl_add_u32 v2, v2, 2, 0
	v_mad_u64_u32 v[4:5], s[0:1], v30, 40, v[24:25]
	s_waitcnt vmcnt(6)
	ds_write_b32 v2, v7
	v_mad_u32_u24 v2, v21, 40, v6
	v_lshl_add_u32 v2, v2, 2, 0
	s_waitcnt vmcnt(5)
	ds_write_b32 v2, v31
	v_mad_u32_u24 v2, v25, 40, v12
	v_lshl_add_u32 v2, v2, 2, 0
	;; [unrolled: 4-line block ×4, first 2 shown]
	s_waitcnt vmcnt(2)
	ds_write_b32 v2, v34
	v_lshl_add_u32 v2, v4, 2, 0
	s_waitcnt vmcnt(1)
	ds_write_b32 v2, v35
	s_waitcnt vmcnt(0)
	v_mad_u64_u32 v[4:5], s[0:1], v14, 40, v[8:9]
	v_lshl_add_u32 v2, v4, 2, 0
	ds_write_b32 v2, v9
	v_or_b32_e32 v2, 0x80, v8
	v_mul_lo_u16_e32 v4, 0xcd, v2
	v_lshrrev_b16_e32 v4, 13, v4
	v_add_u32_e32 v11, v14, v4
	v_mul_lo_u16_e32 v4, 40, v4
	v_sub_u16_e32 v2, v2, v4
	v_and_b32_e32 v2, 0xff, v2
	v_or_b32_e32 v6, 0x80, v2
	v_mul_lo_u16_e32 v7, 0xcd, v6
	v_lshrrev_b16_e32 v7, 13, v7
	v_add_u32_e32 v15, v11, v7
	v_mul_lo_u16_e32 v7, 40, v7
	v_sub_u16_e32 v6, v6, v7
	v_and_b32_e32 v10, 0xff, v6
	v_or_b32_e32 v8, 0x80, v10
	v_mul_lo_u16_e32 v9, 0xcd, v8
	v_mad_u64_u32 v[4:5], s[0:1], v11, s2, v[2:3]
	v_lshrrev_b16_e32 v9, 13, v9
	v_ashrrev_i32_e32 v5, 31, v4
	v_add_u32_e32 v26, v15, v9
	v_mul_lo_u16_e32 v9, 40, v9
	v_lshlrev_b64 v[4:5], 2, v[4:5]
	v_mad_u64_u32 v[6:7], s[0:1], v15, s2, v[10:11]
	v_sub_u16_e32 v8, v8, v9
	v_add_co_u32_e32 v4, vcc, v1, v4
	v_ashrrev_i32_e32 v7, 31, v6
	v_and_b32_e32 v12, 0xff, v8
	v_addc_co_u32_e32 v5, vcc, v3, v5, vcc
	v_lshlrev_b64 v[6:7], 2, v[6:7]
	v_mad_u64_u32 v[8:9], s[0:1], v26, s2, v[12:13]
	v_add_co_u32_e32 v6, vcc, v1, v6
	v_ashrrev_i32_e32 v9, 31, v8
	v_addc_co_u32_e32 v7, vcc, v3, v7, vcc
	v_lshlrev_b64 v[8:9], 2, v[8:9]
	v_add_co_u32_e32 v8, vcc, v1, v8
	v_addc_co_u32_e32 v9, vcc, v3, v9, vcc
	global_load_dword v27, v[4:5], off
	global_load_dword v28, v[6:7], off
	;; [unrolled: 1-line block ×3, first 2 shown]
	v_or_b32_e32 v4, 0x80, v12
	v_mul_lo_u16_e32 v5, 0xcd, v4
	v_lshrrev_b16_e32 v5, 13, v5
	v_add_u32_e32 v30, v26, v5
	v_mul_lo_u16_e32 v5, 40, v5
	v_sub_u16_e32 v4, v4, v5
	v_and_b32_e32 v14, 0xff, v4
	v_mad_u64_u32 v[4:5], s[0:1], v30, s2, v[14:15]
	v_ashrrev_i32_e32 v5, 31, v4
	v_lshlrev_b64 v[4:5], 2, v[4:5]
	v_add_co_u32_e32 v4, vcc, v1, v4
	v_addc_co_u32_e32 v5, vcc, v3, v5, vcc
	global_load_dword v31, v[4:5], off
	v_mad_u64_u32 v[4:5], s[0:1], v11, 40, v[2:3]
	v_or_b32_e32 v2, 0x80, v14
	v_lshl_add_u32 v32, v4, 2, 0
	v_mul_lo_u16_e32 v4, 0xcd, v2
	v_lshrrev_b16_e32 v4, 13, v4
	v_add_u32_e32 v5, v30, v4
	v_mul_lo_u16_e32 v4, 40, v4
	v_sub_u16_e32 v2, v2, v4
	v_and_b32_e32 v2, 0xff, v2
	v_mad_u64_u32 v[6:7], s[0:1], v5, s2, v[2:3]
	v_ashrrev_i32_e32 v7, 31, v6
	v_lshlrev_b64 v[6:7], 2, v[6:7]
	v_or_b32_e32 v4, 0x80, v2
	v_add_co_u32_e32 v18, vcc, v1, v6
	v_mul_lo_u16_e32 v6, 0xcd, v4
	v_lshrrev_b16_e32 v6, 13, v6
	v_addc_co_u32_e32 v19, vcc, v3, v7, vcc
	v_add_u32_e32 v7, v5, v6
	v_mul_lo_u16_e32 v6, 40, v6
	v_sub_u16_e32 v4, v4, v6
	v_and_b32_e32 v4, 0xff, v4
	v_mad_u64_u32 v[8:9], s[0:1], v7, s2, v[4:5]
	v_ashrrev_i32_e32 v9, 31, v8
	v_lshlrev_b64 v[8:9], 2, v[8:9]
	v_or_b32_e32 v6, 0x80, v4
	v_add_co_u32_e32 v20, vcc, v1, v8
	v_mul_lo_u16_e32 v8, 0xcd, v6
	v_lshrrev_b16_e32 v8, 13, v8
	v_addc_co_u32_e32 v21, vcc, v3, v9, vcc
	v_add_u32_e32 v9, v7, v8
	v_mul_lo_u16_e32 v8, 40, v8
	v_sub_u16_e32 v6, v6, v8
	v_and_b32_e32 v6, 0xff, v6
	v_or_b32_e32 v8, 0x80, v6
	v_mul_lo_u16_e32 v11, 0xcd, v8
	v_mad_u64_u32 v[16:17], s[0:1], v9, s2, v[6:7]
	v_lshrrev_b16_e32 v13, 13, v11
	v_ashrrev_i32_e32 v17, 31, v16
	v_add_u32_e32 v11, v9, v13
	v_mul_lo_u16_e32 v13, 40, v13
	v_lshlrev_b64 v[16:17], 2, v[16:17]
	v_sub_u16_e32 v8, v8, v13
	v_add_co_u32_e32 v22, vcc, v1, v16
	v_and_b32_e32 v8, 0xff, v8
	v_addc_co_u32_e32 v23, vcc, v3, v17, vcc
	v_mad_u64_u32 v[16:17], s[0:1], v11, s2, v[8:9]
	v_ashrrev_i32_e32 v17, 31, v16
	v_lshlrev_b64 v[16:17], 2, v[16:17]
	v_add_co_u32_e32 v24, vcc, v1, v16
	v_addc_co_u32_e32 v25, vcc, v3, v17, vcc
	global_load_dword v35, v[18:19], off
	global_load_dword v39, v[20:21], off
	;; [unrolled: 1-line block ×4, first 2 shown]
	v_mad_u64_u32 v[18:19], s[0:1], v15, 40, v[10:11]
	v_lshl_add_u32 v10, v18, 2, 0
	s_waitcnt vmcnt(7)
	ds_write_b32 v32, v27
	s_waitcnt vmcnt(6)
	ds_write_b32 v10, v28
	v_mad_u64_u32 v[14:15], s[0:1], v30, 40, v[14:15]
	s_waitcnt vmcnt(1)
	v_mad_u64_u32 v[18:19], s[0:1], v26, 40, v[12:13]
	v_lshl_add_u32 v10, v18, 2, 0
	ds_write_b32 v10, v29
	v_lshl_add_u32 v10, v14, 2, 0
	ds_write_b32 v10, v31
	v_or_b32_e32 v10, 0x80, v8
	v_mul_lo_u16_e32 v12, 0xcd, v10
	v_lshrrev_b16_e32 v12, 13, v12
	v_add_u32_e32 v43, v11, v12
	v_mul_lo_u16_e32 v12, 40, v12
	v_sub_u16_e32 v10, v10, v12
	v_and_b32_e32 v10, 0xff, v10
	v_or_b32_e32 v12, 0x80, v10
	v_mul_lo_u16_e32 v16, 0xcd, v12
	v_lshrrev_b16_e32 v16, 13, v16
	v_add_u32_e32 v47, v43, v16
	v_mul_lo_u16_e32 v16, 40, v16
	v_sub_u16_e32 v12, v12, v16
	v_and_b32_e32 v12, 0xff, v12
	v_or_b32_e32 v16, 0x80, v12
	v_mul_lo_u16_e32 v20, 0xcd, v16
	v_mad_u64_u32 v[14:15], s[0:1], v43, s2, v[10:11]
	v_lshrrev_b16_e32 v20, 13, v20
	v_ashrrev_i32_e32 v15, 31, v14
	v_add_u32_e32 v50, v47, v20
	v_mul_lo_u16_e32 v20, 40, v20
	v_lshlrev_b64 v[14:15], 2, v[14:15]
	v_mad_u64_u32 v[18:19], s[0:1], v47, s2, v[12:13]
	v_sub_u16_e32 v16, v16, v20
	v_add_co_u32_e32 v14, vcc, v1, v14
	v_ashrrev_i32_e32 v19, 31, v18
	v_and_b32_e32 v16, 0xff, v16
	v_addc_co_u32_e32 v15, vcc, v3, v15, vcc
	v_lshlrev_b64 v[18:19], 2, v[18:19]
	s_waitcnt vmcnt(0)
	v_mad_u64_u32 v[20:21], s[0:1], v50, s2, v[16:17]
	v_add_co_u32_e32 v18, vcc, v1, v18
	v_ashrrev_i32_e32 v21, 31, v20
	v_addc_co_u32_e32 v19, vcc, v3, v19, vcc
	v_lshlrev_b64 v[20:21], 2, v[20:21]
	v_add_co_u32_e32 v22, vcc, v1, v20
	v_or_b32_e32 v20, 0x80, v16
	v_addc_co_u32_e32 v23, vcc, v3, v21, vcc
	v_mul_lo_u16_e32 v21, 0xcd, v20
	v_lshrrev_b16_e32 v21, 13, v21
	v_add_u32_e32 v51, v50, v21
	v_mul_lo_u16_e32 v21, 40, v21
	v_sub_u16_e32 v20, v20, v21
	v_and_b32_e32 v20, 0xff, v20
	v_mad_u64_u32 v[24:25], s[0:1], v51, s2, v[20:21]
	v_ashrrev_i32_e32 v25, 31, v24
	v_lshlrev_b64 v[24:25], 2, v[24:25]
	v_or_b32_e32 v21, 0x80, v20
	v_add_co_u32_e32 v28, vcc, v1, v24
	v_mul_lo_u16_e32 v24, 0xcd, v21
	v_lshrrev_b16_e32 v24, 13, v24
	v_addc_co_u32_e32 v29, vcc, v3, v25, vcc
	v_add_u32_e32 v25, v51, v24
	v_mul_lo_u16_e32 v24, 40, v24
	v_sub_u16_e32 v21, v21, v24
	v_and_b32_e32 v24, 0xff, v21
	v_mad_u64_u32 v[26:27], s[0:1], v25, s2, v[24:25]
	v_ashrrev_i32_e32 v27, 31, v26
	v_lshlrev_b64 v[26:27], 2, v[26:27]
	v_or_b32_e32 v21, 0x80, v24
	v_add_co_u32_e32 v30, vcc, v1, v26
	v_mul_lo_u16_e32 v26, 0xcd, v21
	v_lshrrev_b16_e32 v26, 13, v26
	v_addc_co_u32_e32 v31, vcc, v3, v27, vcc
	v_add_u32_e32 v27, v25, v26
	v_mul_lo_u16_e32 v26, 40, v26
	v_sub_u16_e32 v21, v21, v26
	v_and_b32_e32 v26, 0xff, v21
	v_or_b32_e32 v21, 0x80, v26
	v_mul_lo_u16_e32 v34, 0xcd, v21
	v_lshrrev_b16_e32 v34, 13, v34
	v_add_u32_e32 v52, v27, v34
	v_mul_lo_u16_e32 v34, 40, v34
	v_sub_u16_e32 v21, v21, v34
	v_and_b32_e32 v34, 0xff, v21
	v_or_b32_e32 v21, 0x80, v34
	v_mul_lo_u16_e32 v38, 0xcd, v21
	v_lshrrev_b16_e32 v38, 13, v38
	;; [unrolled: 7-line block ×3, first 2 shown]
	v_mul_lo_u16_e32 v44, 40, v42
	v_mad_u64_u32 v[32:33], s[0:1], v27, s2, v[26:27]
	v_sub_u16_e32 v21, v21, v44
	v_ashrrev_i32_e32 v33, 31, v32
	v_add_u32_e32 v54, v53, v42
	v_and_b32_e32 v42, 0xff, v21
	v_lshlrev_b64 v[32:33], 2, v[32:33]
	v_mad_u64_u32 v[36:37], s[0:1], v52, s2, v[34:35]
	v_or_b32_e32 v21, 0x80, v42
	v_add_co_u32_e32 v32, vcc, v1, v32
	v_ashrrev_i32_e32 v37, 31, v36
	v_mul_lo_u16_e32 v46, 0xcd, v21
	v_addc_co_u32_e32 v33, vcc, v3, v33, vcc
	v_lshlrev_b64 v[36:37], 2, v[36:37]
	v_mad_u64_u32 v[40:41], s[0:1], v53, s2, v[38:39]
	v_lshrrev_b16_e32 v46, 13, v46
	v_add_co_u32_e32 v36, vcc, v1, v36
	v_ashrrev_i32_e32 v41, 31, v40
	v_mul_lo_u16_e32 v48, 40, v46
	v_addc_co_u32_e32 v37, vcc, v3, v37, vcc
	v_lshlrev_b64 v[40:41], 2, v[40:41]
	v_mad_u64_u32 v[44:45], s[0:1], v54, s2, v[42:43]
	v_sub_u16_e32 v21, v21, v48
	v_add_co_u32_e32 v40, vcc, v1, v40
	v_ashrrev_i32_e32 v45, 31, v44
	v_add_u32_e32 v55, v54, v46
	v_and_b32_e32 v46, 0xff, v21
	v_addc_co_u32_e32 v41, vcc, v3, v41, vcc
	v_lshlrev_b64 v[44:45], 2, v[44:45]
	v_mad_u64_u32 v[48:49], s[0:1], v55, s2, v[46:47]
	v_add_co_u32_e32 v44, vcc, v1, v44
	v_ashrrev_i32_e32 v49, 31, v48
	v_addc_co_u32_e32 v45, vcc, v3, v45, vcc
	v_lshlrev_b64 v[48:49], 2, v[48:49]
	v_add_co_u32_e32 v48, vcc, v1, v48
	v_addc_co_u32_e32 v49, vcc, v3, v49, vcc
	global_load_dword v21, v[14:15], off
	global_load_dword v56, v[18:19], off
	;; [unrolled: 1-line block ×9, first 2 shown]
                                        ; kill: killed $vgpr40 killed $vgpr41
                                        ; kill: killed $vgpr28 killed $vgpr29
                                        ; kill: killed $vgpr44 killed $vgpr45
                                        ; kill: killed $vgpr30 killed $vgpr31
                                        ; kill: killed $vgpr14 killed $vgpr15
                                        ; kill: killed $vgpr32 killed $vgpr33
                                        ; kill: killed $vgpr18 killed $vgpr19
                                        ; kill: killed $vgpr36 killed $vgpr37
                                        ; kill: killed $vgpr22 killed $vgpr23
	global_load_dword v18, v[48:49], off
	v_mad_u64_u32 v[14:15], s[0:1], v5, 40, v[2:3]
	v_lshl_add_u32 v2, v14, 2, 0
	v_mad_u64_u32 v[4:5], s[0:1], v7, 40, v[4:5]
	ds_write_b32 v2, v35
	v_lshl_add_u32 v2, v4, 2, 0
	v_mad_u64_u32 v[4:5], s[0:1], v9, 40, v[6:7]
	ds_write_b32 v2, v39
	;; [unrolled: 3-line block ×4, first 2 shown]
	v_lshl_add_u32 v2, v4, 2, 0
	v_mad_u64_u32 v[4:5], s[0:1], v47, 40, v[12:13]
	s_waitcnt vmcnt(9)
	ds_write_b32 v2, v21
	v_lshl_add_u32 v2, v4, 2, 0
	v_mad_u64_u32 v[4:5], s[0:1], v50, 40, v[16:17]
	s_waitcnt vmcnt(8)
	ds_write_b32 v2, v56
	v_lshl_add_u32 v2, v4, 2, 0
	v_mad_u64_u32 v[4:5], s[0:1], v51, 40, v[20:21]
	s_waitcnt vmcnt(7)
	ds_write_b32 v2, v57
	v_lshl_add_u32 v2, v4, 2, 0
	v_mad_u64_u32 v[4:5], s[0:1], v25, 40, v[24:25]
	s_waitcnt vmcnt(6)
	ds_write_b32 v2, v58
	v_lshl_add_u32 v2, v4, 2, 0
	v_mad_u64_u32 v[4:5], s[0:1], v27, 40, v[26:27]
	s_waitcnt vmcnt(5)
	ds_write_b32 v2, v59
	v_lshl_add_u32 v2, v4, 2, 0
	v_mad_u64_u32 v[4:5], s[0:1], v52, 40, v[34:35]
	s_waitcnt vmcnt(4)
	ds_write_b32 v2, v60
	v_lshl_add_u32 v2, v4, 2, 0
	v_mad_u64_u32 v[4:5], s[0:1], v53, 40, v[38:39]
	s_waitcnt vmcnt(3)
	ds_write_b32 v2, v61
	v_lshl_add_u32 v2, v4, 2, 0
	v_mad_u64_u32 v[4:5], s[0:1], v54, 40, v[42:43]
	s_waitcnt vmcnt(2)
	ds_write_b32 v2, v62
	v_lshl_add_u32 v2, v4, 2, 0
	v_mad_u64_u32 v[4:5], s[0:1], v55, 40, v[46:47]
	s_waitcnt vmcnt(1)
	ds_write_b32 v2, v63
	v_lshl_add_u32 v2, v4, 2, 0
	s_waitcnt vmcnt(0)
	ds_write_b32 v2, v18
	v_or_b32_e32 v2, 0x80, v46
	v_mul_lo_u16_e32 v4, 0xcd, v2
	v_lshrrev_b16_e32 v5, 13, v4
	v_add_u32_e32 v4, v55, v5
	v_mul_lo_u16_e32 v5, 40, v5
	v_sub_u16_e32 v2, v2, v5
	v_and_b32_e32 v2, 0xff, v2
	v_cmp_gt_u32_e32 vcc, s7, v4
	s_and_saveexec_b64 s[0:1], vcc
	s_cbranch_execz .LBB7_2
; %bb.1:
	v_mad_u64_u32 v[6:7], s[8:9], v4, s2, v[2:3]
	v_ashrrev_i32_e32 v7, 31, v6
	v_lshlrev_b64 v[6:7], 2, v[6:7]
	v_add_co_u32_e32 v6, vcc, v1, v6
	v_addc_co_u32_e32 v7, vcc, v3, v7, vcc
	global_load_dword v5, v[6:7], off
	v_mad_u64_u32 v[6:7], s[8:9], v4, 40, v[2:3]
	v_lshl_add_u32 v6, v6, 2, 0
	s_waitcnt vmcnt(0)
	ds_write_b32 v6, v5
.LBB7_2:
	s_or_b64 exec, exec, s[0:1]
	v_or_b32_e32 v2, 0x80, v2
	v_mul_lo_u16_e32 v5, 0xcd, v2
	v_lshrrev_b16_e32 v5, 13, v5
	v_add_u32_e32 v4, v4, v5
	v_mul_lo_u16_e32 v5, 40, v5
	v_sub_u16_e32 v2, v2, v5
	v_and_b32_e32 v2, 0xff, v2
	v_cmp_gt_u32_e32 vcc, s7, v4
	s_and_saveexec_b64 s[0:1], vcc
	s_cbranch_execz .LBB7_4
; %bb.3:
	v_mad_u64_u32 v[6:7], s[8:9], v4, s2, v[2:3]
	v_ashrrev_i32_e32 v7, 31, v6
	v_lshlrev_b64 v[6:7], 2, v[6:7]
	v_add_co_u32_e32 v6, vcc, v1, v6
	v_addc_co_u32_e32 v7, vcc, v3, v7, vcc
	global_load_dword v5, v[6:7], off
	v_mad_u64_u32 v[6:7], s[8:9], v4, 40, v[2:3]
	v_lshl_add_u32 v6, v6, 2, 0
	s_waitcnt vmcnt(0)
	ds_write_b32 v6, v5
.LBB7_4:
	s_or_b64 exec, exec, s[0:1]
	;; [unrolled: 23-line block ×6, first 2 shown]
	v_or_b32_e32 v2, 0x80, v2
	v_mul_lo_u16_e32 v5, 0xcd, v2
	v_lshrrev_b16_e32 v5, 13, v5
	v_add_u32_e32 v4, v4, v5
	v_mul_lo_u16_e32 v5, 40, v5
	s_movk_i32 s0, 0x80
	v_sub_u16_e32 v2, v2, v5
	v_and_b32_e32 v2, 0xff, v2
	v_cmp_gt_u32_e32 vcc, s0, v4
	s_and_saveexec_b64 s[0:1], vcc
	s_cbranch_execz .LBB7_14
; %bb.13:
	v_mad_u64_u32 v[6:7], s[8:9], v4, s2, v[2:3]
	v_ashrrev_i32_e32 v7, 31, v6
	v_lshlrev_b64 v[6:7], 2, v[6:7]
	v_add_co_u32_e32 v6, vcc, v1, v6
	v_addc_co_u32_e32 v7, vcc, v3, v7, vcc
	global_load_dword v5, v[6:7], off
	v_mad_u64_u32 v[6:7], s[8:9], v4, 40, v[2:3]
	v_lshl_add_u32 v6, v6, 2, 0
	s_waitcnt vmcnt(0)
	ds_write_b32 v6, v5
.LBB7_14:
	s_or_b64 exec, exec, s[0:1]
	s_load_dwordx4 s[8:11], s[4:5], 0x8
	s_load_dwordx2 s[16:17], s[4:5], 0x28
	s_movk_i32 s0, 0x380
	v_cmp_gt_u32_e32 vcc, s0, v0
	s_and_saveexec_b64 s[0:1], vcc
	s_cbranch_execz .LBB7_35
; %bb.15:
	v_or_b32_e32 v2, 0x80, v2
	v_mul_lo_u16_e32 v5, 0xcd, v2
	v_lshrrev_b16_e32 v5, 13, v5
	v_add_u32_e32 v4, v4, v5
	v_mul_lo_u16_e32 v5, 40, v5
	v_sub_u16_e32 v2, v2, v5
	v_and_b32_e32 v2, 0xff, v2
	v_cmp_gt_u32_e32 vcc, s7, v4
	s_and_saveexec_b64 s[18:19], vcc
	s_cbranch_execz .LBB7_17
; %bb.16:
	v_mad_u64_u32 v[6:7], s[20:21], v4, s2, v[2:3]
	v_ashrrev_i32_e32 v7, 31, v6
	v_lshlrev_b64 v[6:7], 2, v[6:7]
	v_add_co_u32_e32 v6, vcc, v1, v6
	v_addc_co_u32_e32 v7, vcc, v3, v7, vcc
	global_load_dword v5, v[6:7], off
	v_mad_u64_u32 v[6:7], s[20:21], v4, 40, v[2:3]
	v_lshl_add_u32 v6, v6, 2, 0
	s_waitcnt vmcnt(0)
	ds_write_b32 v6, v5
.LBB7_17:
	s_or_b64 exec, exec, s[18:19]
	s_movk_i32 s7, 0x300
	v_cmp_gt_u32_e32 vcc, s7, v0
	s_and_b64 exec, exec, vcc
	s_cbranch_execz .LBB7_35
; %bb.18:
	v_or_b32_e32 v2, 0x80, v2
	v_mul_lo_u16_e32 v5, 0xcd, v2
	v_lshrrev_b16_e32 v5, 13, v5
	v_add_u32_e32 v4, v4, v5
	v_mul_lo_u16_e32 v5, 40, v5
	s_movk_i32 s7, 0x80
	v_sub_u16_e32 v2, v2, v5
	v_and_b32_e32 v2, 0xff, v2
	v_cmp_gt_u32_e32 vcc, s7, v4
	s_and_saveexec_b64 s[18:19], vcc
	s_cbranch_execz .LBB7_20
; %bb.19:
	v_mad_u64_u32 v[6:7], s[20:21], v4, s2, v[2:3]
	v_ashrrev_i32_e32 v7, 31, v6
	v_lshlrev_b64 v[6:7], 2, v[6:7]
	v_add_co_u32_e32 v6, vcc, v1, v6
	v_addc_co_u32_e32 v7, vcc, v3, v7, vcc
	global_load_dword v5, v[6:7], off
	v_mad_u64_u32 v[6:7], s[20:21], v4, 40, v[2:3]
	v_lshl_add_u32 v6, v6, 2, 0
	s_waitcnt vmcnt(0)
	ds_write_b32 v6, v5
.LBB7_20:
	s_or_b64 exec, exec, s[18:19]
	s_movk_i32 s7, 0x280
	v_cmp_gt_u32_e32 vcc, s7, v0
	s_and_b64 exec, exec, vcc
	s_cbranch_execz .LBB7_35
; %bb.21:
	v_or_b32_e32 v2, 0x80, v2
	v_mul_lo_u16_e32 v5, 0xcd, v2
	v_lshrrev_b16_e32 v5, 13, v5
	v_add_u32_e32 v4, v4, v5
	v_mul_lo_u16_e32 v5, 40, v5
	s_movk_i32 s7, 0x80
	;; [unrolled: 29-line block ×5, first 2 shown]
	v_sub_u16_e32 v2, v2, v5
	v_and_b32_e32 v2, 0xff, v2
	v_cmp_gt_u32_e32 vcc, s7, v4
	s_and_saveexec_b64 s[18:19], vcc
	s_cbranch_execz .LBB7_32
; %bb.31:
	v_mad_u64_u32 v[6:7], s[20:21], v4, s2, v[2:3]
	v_ashrrev_i32_e32 v7, 31, v6
	v_lshlrev_b64 v[6:7], 2, v[6:7]
	v_add_co_u32_e32 v6, vcc, v1, v6
	v_addc_co_u32_e32 v7, vcc, v3, v7, vcc
	global_load_dword v5, v[6:7], off
	v_mad_u64_u32 v[6:7], s[20:21], v4, 40, v[2:3]
	v_lshl_add_u32 v6, v6, 2, 0
	s_waitcnt vmcnt(0)
	ds_write_b32 v6, v5
.LBB7_32:
	s_or_b64 exec, exec, s[18:19]
	v_cmp_gt_u32_e32 vcc, s7, v0
	s_and_b64 exec, exec, vcc
	s_cbranch_execz .LBB7_35
; %bb.33:
	v_or_b32_e32 v5, 0x80, v2
	v_mul_lo_u16_e32 v2, 0xcd, v5
	v_lshrrev_b16_e32 v6, 13, v2
	v_add_u32_e32 v2, v4, v6
	v_cmp_gt_u32_e32 vcc, s7, v2
	s_and_b64 exec, exec, vcc
	s_cbranch_execz .LBB7_35
; %bb.34:
	v_mul_lo_u16_e32 v4, 40, v6
	v_sub_u16_e32 v4, v5, v4
	v_and_b32_e32 v4, 0xff, v4
	v_mad_u64_u32 v[6:7], s[18:19], v2, s2, v[4:5]
	v_ashrrev_i32_e32 v7, 31, v6
	v_lshlrev_b64 v[6:7], 2, v[6:7]
	v_add_co_u32_e32 v6, vcc, v1, v6
	v_addc_co_u32_e32 v7, vcc, v3, v7, vcc
	global_load_dword v1, v[6:7], off
	v_mad_u64_u32 v[2:3], s[18:19], v2, 40, v[4:5]
	v_lshl_add_u32 v2, v2, 2, 0
	s_waitcnt vmcnt(0)
	ds_write_b32 v2, v1
.LBB7_35:
	s_or_b64 exec, exec, s[0:1]
	s_ashr_i32 s0, s3, 31
	s_mul_hi_u32 s1, s12, s3
	s_mul_i32 s0, s12, s0
	s_add_i32 s0, s1, s0
	s_mul_i32 s1, s13, s3
	s_add_i32 s0, s0, s1
	s_mul_i32 s1, s12, s3
	s_waitcnt lgkmcnt(0)
	s_add_u32 s1, s8, s1
	s_addc_u32 s0, s9, s0
	s_ashr_i32 s2, s3, 2
	v_mul_lo_u32 v2, s2, v0
	v_ashrrev_i32_e32 v3, 31, v2
	v_lshlrev_b64 v[2:3], 2, v[2:3]
	v_mov_b32_e32 v1, s0
	v_add_co_u32_e32 v12, vcc, s1, v2
	v_addc_co_u32_e32 v13, vcc, v1, v3, vcc
	s_barrier
	global_load_dword v11, v[12:13], off offset:32
	global_load_dwordx4 v[6:9], v[12:13], off offset:16
	global_load_dwordx4 v[2:5], v[12:13], off
	s_cmp_eq_u64 s[10:11], 0
	v_lshlrev_b32_e32 v32, 2, v0
	s_cbranch_scc1 .LBB7_37
; %bb.36:
	s_lshl_b64 s[0:1], s[12:13], 2
	s_add_u32 s0, s10, s0
	s_addc_u32 s1, s11, s1
	global_load_dword v12, v32, s[0:1]
	s_branch .LBB7_38
.LBB7_37:
	v_mov_b32_e32 v12, 0
.LBB7_38:
	s_load_dwordx2 s[0:1], s[4:5], 0x40
	s_waitcnt lgkmcnt(0)
	s_sub_u32 s0, s0, s14
	s_subb_u32 s1, s1, s15
	v_cmp_lt_i64_e64 s[2:3], s[0:1], 1
	s_and_b64 vcc, exec, s[2:3]
	s_cbranch_vccnz .LBB7_46
; %bb.39:
	s_load_dwordx4 s[8:11], s[4:5], 0x30
	s_waitcnt vmcnt(0)
	v_mov_b32_e32 v14, v3
	v_mov_b32_e32 v15, v4
	;; [unrolled: 1-line block ×4, first 2 shown]
	s_waitcnt lgkmcnt(0)
	s_ashr_i32 s2, s9, 31
	s_mul_hi_u32 s3, s14, s9
	s_mul_i32 s2, s14, s2
	s_add_i32 s2, s3, s2
	s_mul_i32 s3, s15, s9
	s_add_i32 s15, s2, s3
	s_ashr_i32 s2, s8, 31
	s_mul_hi_u32 s3, s12, s8
	s_mul_i32 s2, s12, s2
	s_mul_i32 s10, s6, s10
	s_add_i32 s2, s3, s2
	s_mul_i32 s3, s13, s8
	s_ashr_i32 s11, s10, 31
	s_add_i32 s13, s2, s3
	s_ashr_i32 s2, s9, 2
	v_cmp_lt_i64_e64 s[6:7], s[0:1], 32
	s_and_b64 s[6:7], s[6:7], exec
	s_cselect_b32 s7, s1, 0
	s_cselect_b32 s6, s0, 32
	s_mul_i32 s14, s14, s9
	s_mul_i32 s12, s12, s8
	v_cmp_gt_i64_e64 s[8:9], s[6:7], 1
	s_and_b64 s[8:9], s[8:9], exec
	s_cselect_b32 s7, s7, 0
	s_cselect_b32 s6, s6, 1
	s_cmp_eq_u64 s[0:1], 1
	s_cselect_b64 s[0:1], -1, 0
	s_cmp_lg_u32 s2, 1
	s_cselect_b64 s[8:9], -1, 0
	s_or_b64 s[0:1], s[0:1], s[8:9]
	v_mov_b32_e32 v6, v7
	v_mov_b32_e32 v7, v8
	;; [unrolled: 1-line block ×3, first 2 shown]
	s_mov_b32 s5, 0
	v_mul_u32_u24_e32 v33, 40, v0
	s_and_b64 vcc, exec, s[0:1]
	s_cbranch_vccnz .LBB7_43
; %bb.40:
	s_add_u32 s0, s16, s10
	s_addc_u32 s1, s17, s11
	s_add_u32 s0, s0, s14
	v_lshl_add_u32 v35, v33, 2, 0
	s_addc_u32 s1, s1, s15
	ds_read2_b32 v[30:31], v35 offset1:1
	s_add_u32 s0, s0, s12
	s_addc_u32 s1, s1, s13
	v_mov_b32_e32 v1, s1
	v_add_co_u32_e32 v0, vcc, s0, v32
	s_and_b32 s4, s6, 62
	v_addc_co_u32_e32 v1, vcc, 0, v1, vcc
	v_mov_b32_e32 v3, v2
	v_mov_b32_e32 v8, v14
	;; [unrolled: 1-line block ×18, first 2 shown]
	s_mov_b32 s3, 0xbfb8aa3b
	s_mov_b32 s18, 0x42ce8ed0
	;; [unrolled: 1-line block ×3, first 2 shown]
	v_mov_b32_e32 v34, 0x7f800000
	s_mov_b64 s[8:9], s[4:5]
.LBB7_41:                               ; =>This Inner Loop Header: Depth=1
	s_waitcnt lgkmcnt(0)
	v_pk_fma_f32 v[36:37], v[2:3], v[30:31], 0 op_sel_hi:[1,1,0]
	ds_read2_b32 v[38:39], v35 offset0:1 offset1:2
	ds_read2_b32 v[30:31], v35 offset0:2 offset1:3
	;; [unrolled: 1-line block ×8, first 2 shown]
	s_waitcnt lgkmcnt(7)
	v_pk_fma_f32 v[36:37], v[8:9], v[38:39], v[36:37]
	s_waitcnt lgkmcnt(6)
	v_pk_fma_f32 v[36:37], v[16:17], v[30:31], v[36:37]
	s_waitcnt lgkmcnt(5)
	v_pk_fma_f32 v[36:37], v[18:19], v[40:41], v[36:37]
	s_waitcnt lgkmcnt(4)
	v_pk_fma_f32 v[36:37], v[20:21], v[42:43], v[36:37]
	s_waitcnt lgkmcnt(3)
	v_pk_fma_f32 v[36:37], v[22:23], v[44:45], v[36:37]
	s_waitcnt lgkmcnt(2)
	v_pk_fma_f32 v[36:37], v[24:25], v[46:47], v[36:37]
	s_waitcnt lgkmcnt(1)
	v_pk_fma_f32 v[36:37], v[26:27], v[48:49], v[36:37]
	s_waitcnt lgkmcnt(0)
	v_pk_fma_f32 v[36:37], v[28:29], v[50:51], v[36:37]
	v_pk_add_f32 v[36:37], v[12:13], v[36:37]
	v_mul_f32_e32 v38, 0xbfb8aa3b, v37
	v_mul_f32_e32 v39, 0xbfb8aa3b, v36
	v_fma_f32 v40, v37, s3, -v38
	v_rndne_f32_e32 v41, v38
	v_fma_f32 v42, v36, s3, -v39
	v_rndne_f32_e32 v43, v39
	v_fmac_f32_e32 v40, 0xb2a5705f, v37
	v_sub_f32_e32 v38, v38, v41
	v_fmac_f32_e32 v42, 0xb2a5705f, v36
	v_sub_f32_e32 v39, v39, v43
	v_add_f32_e32 v38, v38, v40
	v_add_f32_e32 v39, v39, v42
	v_cvt_i32_f32_e32 v41, v41
	v_cvt_i32_f32_e32 v43, v43
	v_exp_f32_e32 v38, v38
	v_exp_f32_e32 v39, v39
	v_cmp_nlt_f32_e32 vcc, s18, v36
	v_cmp_nlt_f32_e64 s[0:1], s18, v37
	v_ldexp_f32 v38, v38, v41
	v_ldexp_f32 v39, v39, v43
	v_cndmask_b32_e64 v38, 0, v38, s[0:1]
	v_cndmask_b32_e32 v40, 0, v39, vcc
	v_cmp_ngt_f32_e32 vcc, s19, v36
	v_cmp_ngt_f32_e64 s[0:1], s19, v37
	v_cndmask_b32_e64 v39, v34, v38, s[0:1]
	v_cndmask_b32_e32 v38, v34, v40, vcc
	v_pk_add_f32 v[38:39], v[38:39], 1.0 op_sel_hi:[1,0]
	v_div_scale_f32 v40, s[0:1], v39, v39, v37
	v_div_scale_f32 v42, s[0:1], v38, v38, v36
	v_rcp_f32_e32 v44, v40
	v_rcp_f32_e32 v45, v42
	v_div_scale_f32 v41, vcc, v37, v39, v37
	v_fma_f32 v46, -v40, v44, 1.0
	v_fma_f32 v47, -v42, v45, 1.0
	v_fmac_f32_e32 v44, v46, v44
	v_div_scale_f32 v43, s[0:1], v36, v38, v36
	v_fmac_f32_e32 v45, v47, v45
	v_mul_f32_e32 v46, v41, v44
	v_mul_f32_e32 v47, v43, v45
	v_fma_f32 v48, -v40, v46, v41
	v_fma_f32 v49, -v42, v47, v43
	v_fmac_f32_e32 v46, v48, v44
	v_fmac_f32_e32 v47, v49, v45
	v_fma_f32 v40, -v40, v46, v41
	v_fma_f32 v41, -v42, v47, v43
	v_div_fmas_f32 v40, v40, v44, v46
	s_mov_b64 vcc, s[0:1]
	v_div_fixup_f32 v37, v40, v39, v37
	v_div_fmas_f32 v39, v41, v45, v47
	s_add_u32 s8, s8, -2
	v_div_fixup_f32 v36, v39, v38, v36
	v_add_u32_e32 v52, 8, v35
	s_addc_u32 s9, s9, -1
	global_store_dwordx2 v[0:1], v[36:37], off
	v_add_co_u32_e32 v0, vcc, 8, v0
	v_mov_b32_e32 v35, v52
	s_cmp_lg_u64 s[8:9], 0
	v_addc_co_u32_e32 v1, vcc, 0, v1, vcc
	s_cbranch_scc1 .LBB7_41
; %bb.42:
	s_cmp_lg_u64 s[6:7], s[4:5]
	s_cselect_b64 s[0:1], -1, 0
	s_and_b64 vcc, exec, s[0:1]
	s_cbranch_vccnz .LBB7_44
	s_branch .LBB7_46
.LBB7_43:
	s_mov_b64 s[4:5], 0
	s_cbranch_execz .LBB7_46
.LBB7_44:
	s_ashr_i32 s3, s2, 31
	s_sub_u32 s6, s4, s6
	s_subb_u32 s7, s5, s7
	s_add_u32 s5, s12, s14
	s_mul_hi_i32 s1, s4, s2
	s_mul_i32 s0, s4, s2
	s_addc_u32 s8, s13, s15
	s_lshl_b64 s[0:1], s[0:1], 2
	s_add_u32 s0, s5, s0
	s_addc_u32 s1, s8, s1
	v_add_u32_e32 v3, s4, v33
	s_add_u32 s5, s16, s10
	v_lshl_add_u32 v16, v3, 2, 0
	s_addc_u32 s8, s17, s11
	ds_read_b32 v8, v16
	s_add_u32 s0, s5, s0
	s_addc_u32 s1, s8, s1
	v_mov_b32_e32 v1, s1
	v_add_co_u32_e32 v0, vcc, s0, v32
	s_lshl_b64 s[2:3], s[2:3], 2
	v_addc_co_u32_e32 v1, vcc, 0, v1, vcc
	s_mov_b32 s4, 0xbfb8aa3b
	s_mov_b32 s5, 0x42ce8ed0
	;; [unrolled: 1-line block ×3, first 2 shown]
	v_mov_b32_e32 v3, 0x7f800000
	v_mov_b32_e32 v13, s3
.LBB7_45:                               ; =>This Inner Loop Header: Depth=1
	s_waitcnt lgkmcnt(0)
	v_fma_f32 v17, v2, v8, 0
	ds_read2_b32 v[8:9], v16 offset0:1 offset1:2
	ds_read2_b32 v[18:19], v16 offset0:3 offset1:4
	;; [unrolled: 1-line block ×4, first 2 shown]
	v_add_u32_e32 v24, 4, v16
	v_mov_b32_e32 v16, v24
	s_waitcnt lgkmcnt(3)
	v_pk_mul_f32 v[24:25], v[14:15], v[8:9]
	v_add_f32_e32 v9, v17, v24
	s_waitcnt lgkmcnt(2)
	v_pk_mul_f32 v[18:19], v[4:5], v[18:19]
	v_add_f32_e32 v9, v9, v25
	v_add_f32_e32 v9, v9, v18
	s_waitcnt lgkmcnt(1)
	v_pk_mul_f32 v[20:21], v[6:7], v[20:21]
	v_add_f32_e32 v9, v9, v19
	;; [unrolled: 4-line block ×3, first 2 shown]
	v_add_f32_e32 v9, v9, v22
	v_add_f32_e32 v9, v9, v23
	;; [unrolled: 1-line block ×3, first 2 shown]
	v_mul_f32_e32 v17, 0xbfb8aa3b, v9
	v_fma_f32 v18, v9, s4, -v17
	v_rndne_f32_e32 v19, v17
	v_fmac_f32_e32 v18, 0xb2a5705f, v9
	v_sub_f32_e32 v17, v17, v19
	v_add_f32_e32 v17, v17, v18
	v_cvt_i32_f32_e32 v19, v19
	v_exp_f32_e32 v17, v17
	v_cmp_nlt_f32_e32 vcc, s5, v9
	s_add_u32 s6, s6, 1
	s_addc_u32 s7, s7, 0
	v_ldexp_f32 v17, v17, v19
	v_cndmask_b32_e32 v17, 0, v17, vcc
	v_cmp_ngt_f32_e32 vcc, s8, v9
	v_cndmask_b32_e32 v17, v3, v17, vcc
	v_add_f32_e32 v17, 1.0, v17
	v_div_scale_f32 v18, s[10:11], v17, v17, v9
	v_rcp_f32_e32 v20, v18
	v_div_scale_f32 v19, vcc, v9, v17, v9
	s_cmp_eq_u64 s[6:7], 0
	v_fma_f32 v21, -v18, v20, 1.0
	v_fmac_f32_e32 v20, v21, v20
	v_mul_f32_e32 v21, v19, v20
	v_fma_f32 v22, -v18, v21, v19
	v_fmac_f32_e32 v21, v22, v20
	v_fma_f32 v18, -v18, v21, v19
	v_div_fmas_f32 v18, v18, v20, v21
	s_cselect_b64 s[0:1], -1, 0
	v_div_fixup_f32 v9, v18, v17, v9
	s_andn2_b64 vcc, exec, s[0:1]
	global_store_dword v[0:1], v9, off
	v_add_co_u32_e64 v0, s[0:1], s2, v0
	v_addc_co_u32_e64 v1, s[0:1], v1, v13, s[0:1]
	s_cbranch_vccnz .LBB7_45
.LBB7_46:
	s_endpgm
	.section	.rodata,"a",@progbits
	.p2align	6, 0x0
	.amdhsa_kernel _ZL23ssm_conv_long_token_f32ILb1ELm128ELm9ELl32EEvPKfS1_S1_iiiiPfiiil
		.amdhsa_group_segment_fixed_size 0
		.amdhsa_private_segment_fixed_size 0
		.amdhsa_kernarg_size 72
		.amdhsa_user_sgpr_count 6
		.amdhsa_user_sgpr_private_segment_buffer 1
		.amdhsa_user_sgpr_dispatch_ptr 0
		.amdhsa_user_sgpr_queue_ptr 0
		.amdhsa_user_sgpr_kernarg_segment_ptr 1
		.amdhsa_user_sgpr_dispatch_id 0
		.amdhsa_user_sgpr_flat_scratch_init 0
		.amdhsa_user_sgpr_kernarg_preload_length 0
		.amdhsa_user_sgpr_kernarg_preload_offset 0
		.amdhsa_user_sgpr_private_segment_size 0
		.amdhsa_uses_dynamic_stack 0
		.amdhsa_system_sgpr_private_segment_wavefront_offset 0
		.amdhsa_system_sgpr_workgroup_id_x 1
		.amdhsa_system_sgpr_workgroup_id_y 1
		.amdhsa_system_sgpr_workgroup_id_z 1
		.amdhsa_system_sgpr_workgroup_info 0
		.amdhsa_system_vgpr_workitem_id 0
		.amdhsa_next_free_vgpr 64
		.amdhsa_next_free_sgpr 22
		.amdhsa_accum_offset 64
		.amdhsa_reserve_vcc 1
		.amdhsa_reserve_flat_scratch 0
		.amdhsa_float_round_mode_32 0
		.amdhsa_float_round_mode_16_64 0
		.amdhsa_float_denorm_mode_32 3
		.amdhsa_float_denorm_mode_16_64 3
		.amdhsa_dx10_clamp 1
		.amdhsa_ieee_mode 1
		.amdhsa_fp16_overflow 0
		.amdhsa_tg_split 0
		.amdhsa_exception_fp_ieee_invalid_op 0
		.amdhsa_exception_fp_denorm_src 0
		.amdhsa_exception_fp_ieee_div_zero 0
		.amdhsa_exception_fp_ieee_overflow 0
		.amdhsa_exception_fp_ieee_underflow 0
		.amdhsa_exception_fp_ieee_inexact 0
		.amdhsa_exception_int_div_zero 0
	.end_amdhsa_kernel
	.section	.text._ZL23ssm_conv_long_token_f32ILb1ELm128ELm9ELl32EEvPKfS1_S1_iiiiPfiiil,"axG",@progbits,_ZL23ssm_conv_long_token_f32ILb1ELm128ELm9ELl32EEvPKfS1_S1_iiiiPfiiil,comdat
.Lfunc_end7:
	.size	_ZL23ssm_conv_long_token_f32ILb1ELm128ELm9ELl32EEvPKfS1_S1_iiiiPfiiil, .Lfunc_end7-_ZL23ssm_conv_long_token_f32ILb1ELm128ELm9ELl32EEvPKfS1_S1_iiiiPfiiil
                                        ; -- End function
	.section	.AMDGPU.csdata,"",@progbits
; Kernel info:
; codeLenInByte = 6220
; NumSgprs: 26
; NumVgprs: 64
; NumAgprs: 0
; TotalNumVgprs: 64
; ScratchSize: 0
; MemoryBound: 0
; FloatMode: 240
; IeeeMode: 1
; LDSByteSize: 0 bytes/workgroup (compile time only)
; SGPRBlocks: 3
; VGPRBlocks: 7
; NumSGPRsForWavesPerEU: 26
; NumVGPRsForWavesPerEU: 64
; AccumOffset: 64
; Occupancy: 8
; WaveLimiterHint : 0
; COMPUTE_PGM_RSRC2:SCRATCH_EN: 0
; COMPUTE_PGM_RSRC2:USER_SGPR: 6
; COMPUTE_PGM_RSRC2:TRAP_HANDLER: 0
; COMPUTE_PGM_RSRC2:TGID_X_EN: 1
; COMPUTE_PGM_RSRC2:TGID_Y_EN: 1
; COMPUTE_PGM_RSRC2:TGID_Z_EN: 1
; COMPUTE_PGM_RSRC2:TIDIG_COMP_CNT: 0
; COMPUTE_PGM_RSRC3_GFX90A:ACCUM_OFFSET: 15
; COMPUTE_PGM_RSRC3_GFX90A:TG_SPLIT: 0
	.section	.text._ZL12ssm_conv_f32ILb1ELm128ELm15EEvPKfS1_S1_iiiiPfiiil,"axG",@progbits,_ZL12ssm_conv_f32ILb1ELm128ELm15EEvPKfS1_S1_iiiiPfiiil,comdat
	.globl	_ZL12ssm_conv_f32ILb1ELm128ELm15EEvPKfS1_S1_iiiiPfiiil ; -- Begin function _ZL12ssm_conv_f32ILb1ELm128ELm15EEvPKfS1_S1_iiiiPfiiil
	.p2align	8
	.type	_ZL12ssm_conv_f32ILb1ELm128ELm15EEvPKfS1_S1_iiiiPfiiil,@function
_ZL12ssm_conv_f32ILb1ELm128ELm15EEvPKfS1_S1_iiiiPfiiil: ; @_ZL12ssm_conv_f32ILb1ELm128ELm15EEvPKfS1_S1_iiiiPfiiil
; %bb.0:
	s_load_dwordx2 s[0:1], s[4:5], 0x10
	s_mov_b32 s8, s7
	s_ashr_i32 s9, s7, 31
	s_lshl_b64 s[18:19], s[8:9], 7
	v_lshlrev_b32_e32 v15, 2, v0
	s_waitcnt lgkmcnt(0)
	s_cmp_eq_u64 s[0:1], 0
	s_cbranch_scc1 .LBB8_2
; %bb.1:
	s_lshl_b64 s[2:3], s[18:19], 2
	s_add_u32 s0, s0, s2
	s_addc_u32 s1, s1, s3
	global_load_dword v31, v15, s[0:1]
	s_load_dwordx2 s[16:17], s[4:5], 0x40
	s_waitcnt lgkmcnt(0)
	v_cmp_lt_i64_e64 s[0:1], s[16:17], 1
	s_and_b64 vcc, exec, s[0:1]
	s_cbranch_vccz .LBB8_3
	s_branch .LBB8_6
.LBB8_2:
	v_mov_b32_e32 v31, 0
	s_load_dwordx2 s[16:17], s[4:5], 0x40
	s_waitcnt lgkmcnt(0)
	v_cmp_lt_i64_e64 s[0:1], s[16:17], 1
	s_and_b64 vcc, exec, s[0:1]
	s_cbranch_vccnz .LBB8_6
.LBB8_3:
	s_load_dwordx4 s[12:15], s[4:5], 0x1c
	s_load_dwordx4 s[0:3], s[4:5], 0x0
	v_mov_b32_e32 v1, s8
	v_alignbit_b32 v1, s9, v1, 25
	s_mov_b32 s33, 0xbfb8aa3b
	s_waitcnt lgkmcnt(0)
	s_ashr_i32 s7, s14, 31
	s_mul_hi_u32 s8, s18, s14
	s_mul_i32 s7, s18, s7
	v_mul_lo_u32 v1, v1, s14
	s_add_i32 s8, s8, s7
	s_mul_i32 s7, s18, s14
	v_add_u32_e32 v1, s8, v1
	s_ashr_i32 s8, s14, 2
	v_mul_lo_u32 v2, s8, v0
	v_mov_b32_e32 v4, s7
	v_mov_b32_e32 v5, s3
	v_ashrrev_i32_e32 v3, 31, v2
	v_add_co_u32_e32 v4, vcc, s2, v4
	v_addc_co_u32_e32 v1, vcc, v5, v1, vcc
	v_lshlrev_b64 v[2:3], 2, v[2:3]
	v_add_co_u32_e32 v34, vcc, v4, v2
	v_addc_co_u32_e32 v35, vcc, v1, v3, vcc
	global_load_dwordx4 v[16:19], v[34:35], off
	s_load_dwordx2 s[14:15], s[4:5], 0x28
	s_load_dwordx4 s[8:11], s[4:5], 0x30
	s_ashr_i32 s2, s12, 31
	s_mul_hi_u32 s3, s18, s12
	s_mul_i32 s2, s18, s2
	s_mul_i32 s7, s6, s13
	s_add_i32 s2, s3, s2
	s_mul_i32 s3, s19, s12
	s_waitcnt lgkmcnt(0)
	s_mul_i32 s4, s6, s10
	s_ashr_i32 s11, s7, 31
	s_add_i32 s13, s2, s3
	s_ashr_i32 s5, s4, 31
	s_add_u32 s2, s14, s4
	s_addc_u32 s3, s15, s5
	s_ashr_i32 s6, s8, 31
	s_mul_hi_u32 s10, s18, s8
	s_mul_i32 s6, s18, s6
	s_add_i32 s6, s10, s6
	s_mul_i32 s10, s19, s8
	s_add_i32 s6, s6, s10
	s_mul_i32 s8, s18, s8
	s_add_u32 s2, s2, s8
	s_addc_u32 s3, s3, s6
	s_add_u32 s10, s0, s7
	s_mul_i32 s20, s18, s12
	s_addc_u32 s18, s1, s11
	s_add_u32 s10, s10, s20
	s_addc_u32 s18, s18, s13
	s_ashr_i32 s12, s12, 2
	v_mul_lo_u32 v0, s12, v0
	v_ashrrev_i32_e32 v1, 31, v0
	v_lshlrev_b64 v[32:33], 2, v[0:1]
	v_mov_b32_e32 v0, s18
	v_add_co_u32_e32 v36, vcc, s10, v32
	v_addc_co_u32_e32 v37, vcc, v0, v33, vcc
	global_load_dwordx4 v[0:3], v[36:37], off
	global_load_dwordx4 v[20:23], v[34:35], off offset:16
	global_load_dwordx4 v[4:7], v[36:37], off offset:16
	;; [unrolled: 1-line block ×4, first 2 shown]
	global_load_dwordx3 v[28:30], v[34:35], off offset:48
	global_load_dwordx3 v[12:14], v[36:37], off offset:48
	s_mov_b32 s38, 0x42ce8ed0
	s_mov_b32 s39, 0xc2b17218
	s_cmp_eq_u64 s[16:17], 1
	s_waitcnt vmcnt(6)
	v_fma_f32 v34, v16, v0, 0
	v_fmac_f32_e32 v34, v17, v1
	v_fmac_f32_e32 v34, v18, v2
	v_fmac_f32_e32 v34, v19, v3
	s_waitcnt vmcnt(4)
	v_fmac_f32_e32 v34, v20, v4
	v_fmac_f32_e32 v34, v21, v5
	v_fmac_f32_e32 v34, v22, v6
	v_fmac_f32_e32 v34, v23, v7
	s_waitcnt vmcnt(2)
	v_fmac_f32_e32 v34, v24, v8
	;; [unrolled: 5-line block ×3, first 2 shown]
	v_fmac_f32_e32 v34, v29, v13
	v_fmac_f32_e32 v34, v30, v14
	v_add_f32_e32 v34, v31, v34
	v_mul_f32_e32 v35, 0xbfb8aa3b, v34
	v_fma_f32 v36, v34, s33, -v35
	v_rndne_f32_e32 v37, v35
	v_fmac_f32_e32 v36, 0xb2a5705f, v34
	v_sub_f32_e32 v35, v35, v37
	v_add_f32_e32 v35, v35, v36
	v_cvt_i32_f32_e32 v37, v37
	v_exp_f32_e32 v35, v35
	v_cmp_nlt_f32_e32 vcc, s38, v34
	v_mov_b32_e32 v36, 0x7f800000
	v_ldexp_f32 v35, v35, v37
	v_cndmask_b32_e32 v35, 0, v35, vcc
	v_cmp_ngt_f32_e32 vcc, s39, v34
	v_cndmask_b32_e32 v35, v36, v35, vcc
	v_add_f32_e32 v35, 1.0, v35
	v_div_scale_f32 v37, s[18:19], v35, v35, v34
	v_rcp_f32_e32 v38, v37
	v_div_scale_f32 v39, vcc, v34, v35, v34
	v_fma_f32 v40, -v37, v38, 1.0
	v_fmac_f32_e32 v38, v40, v38
	v_mul_f32_e32 v40, v39, v38
	v_fma_f32 v41, -v37, v40, v39
	v_fmac_f32_e32 v40, v41, v38
	v_fma_f32 v37, -v37, v40, v39
	v_div_fmas_f32 v37, v37, v38, v40
	v_div_fixup_f32 v34, v37, v35, v34
	global_store_dword v15, v34, s[2:3]
	s_cbranch_scc1 .LBB8_6
; %bb.4:
	s_ashr_i32 s2, s9, 2
	s_ashr_i32 s3, s2, 31
	s_add_u32 s0, s0, s7
	s_addc_u32 s1, s1, s11
	s_add_u32 s0, s0, s20
	s_addc_u32 s1, s1, s13
	v_add_co_u32_e32 v32, vcc, s0, v32
	s_add_u32 s0, s16, -1
	v_mov_b32_e32 v34, s1
	s_addc_u32 s1, s17, -1
	s_lshl_b64 s[2:3], s[2:3], 2
	s_add_u32 s7, s8, s2
	s_addc_u32 s6, s6, s3
	s_add_u32 s4, s14, s4
	v_addc_co_u32_e32 v33, vcc, v34, v33, vcc
	s_addc_u32 s5, s15, s5
	v_add_co_u32_e32 v32, vcc, 60, v32
	s_add_u32 s4, s4, s7
	v_addc_co_u32_e32 v33, vcc, 0, v33, vcc
	s_addc_u32 s5, s5, s6
	v_mov_b32_e32 v35, s5
	v_add_co_u32_e32 v34, vcc, s4, v15
	v_addc_co_u32_e32 v35, vcc, 0, v35, vcc
	s_mov_b64 s[4:5], 1
	s_mov_b64 s[6:7], 0
	s_mov_b64 s[8:9], 15
	s_mov_b64 s[10:11], 14
	s_mov_b64 s[12:13], 13
	s_mov_b64 s[14:15], 12
	s_mov_b64 s[16:17], 11
	s_mov_b64 s[18:19], 10
	s_mov_b64 s[20:21], 9
	s_mov_b64 s[22:23], 8
	s_mov_b64 s[24:25], 7
	s_mov_b64 s[26:27], 6
	s_mov_b64 s[28:29], 5
	s_mov_b64 s[30:31], 4
	s_mov_b64 s[34:35], 3
	s_mov_b64 s[36:37], 2
.LBB8_5:                                ; =>This Inner Loop Header: Depth=1
	s_add_u32 s40, 0, 0x11108400
	s_addc_u32 s41, 0, 49
	s_mul_hi_u32 s43, s40, -15
	s_add_i32 s41, s41, 0x111110e0
	s_sub_i32 s43, s43, s40
	s_mul_i32 s46, s41, -15
	s_mul_i32 s42, s40, -15
	s_add_i32 s43, s43, s46
	s_mul_hi_u32 s44, s40, s42
	s_mul_i32 s47, s40, s43
	s_mul_hi_u32 s46, s40, s43
	s_add_u32 s44, s44, s47
	s_mul_hi_u32 s45, s41, s42
	s_mul_i32 s42, s41, s42
	s_addc_u32 s46, 0, s46
	s_add_u32 s42, s44, s42
	s_mul_hi_u32 s48, s41, s43
	s_addc_u32 s42, s46, s45
	s_mul_i32 s43, s41, s43
	s_addc_u32 s44, s48, 0
	global_load_dword v37, v[32:33], off
	v_add_co_u32_e32 v32, vcc, 4, v32
	s_add_u32 s42, s42, s43
	v_addc_co_u32_e32 v33, vcc, 0, v33, vcc
	v_mov_b32_e32 v39, s42
	s_addc_u32 s43, 0, s44
	v_add_co_u32_e32 v39, vcc, s40, v39
	s_cmp_lg_u64 vcc, 0
	v_readfirstlane_b32 s68, v39
	s_addc_u32 s40, s41, s43
	s_mul_hi_u32 s41, s4, s68
	s_mul_i32 s53, s4, s40
	s_mul_hi_u32 s44, s4, s40
	s_add_u32 s41, s41, s53
	s_mul_i32 s43, s5, s68
	s_addc_u32 s44, 0, s44
	s_mul_hi_u32 s42, s5, s68
	s_add_u32 s41, s41, s43
	s_mul_hi_u32 s53, s5, s40
	s_addc_u32 s42, s44, s42
	s_mul_i32 s41, s5, s40
	s_addc_u32 s43, s53, 0
	s_add_u32 s41, s42, s41
	s_addc_u32 s42, 0, s43
	s_mul_i32 s44, s41, 15
	s_mul_hi_u32 s43, s41, 15
	s_mul_i32 s42, s42, 15
	v_mov_b32_e32 v39, s44
	s_add_i32 s43, s43, s42
	v_sub_co_u32_e32 v39, vcc, s4, v39
	s_cmp_lg_u64 vcc, 0
	v_subrev_co_u32_e32 v40, vcc, 15, v39
	s_subb_u32 s42, s5, s43
	s_cmp_lg_u64 vcc, 0
	v_readfirstlane_b32 s43, v40
	s_subb_u32 s44, s42, 0
	s_cmp_gt_u32 s43, 14
	s_cselect_b32 s43, -1, 0
	s_cmp_eq_u32 s44, 0
	s_cselect_b32 s43, s43, -1
	s_add_i32 s44, s41, 1
	s_add_i32 s53, s41, 2
	s_cmp_lg_u32 s43, 0
	s_cselect_b32 s53, s53, s44
	v_readfirstlane_b32 s44, v39
	s_cmp_gt_u32 s44, 14
	s_cselect_b32 s57, -1, 0
	s_cmp_eq_u32 s42, 0
	s_cselect_b32 s42, s57, -1
	s_cmp_lg_u32 s42, 0
	s_mul_hi_u32 s47, s8, s68
	s_cselect_b32 s41, s53, s41
	s_mul_i32 s53, s8, s40
	s_mul_hi_u32 s42, s8, s40
	s_add_u32 s47, s47, s53
	s_mul_i32 s50, s9, s68
	s_addc_u32 s42, 0, s42
	s_mul_hi_u32 s49, s9, s68
	s_add_u32 s47, s47, s50
	s_mul_hi_u32 s53, s9, s40
	s_addc_u32 s42, s42, s49
	s_mul_i32 s47, s9, s40
	s_addc_u32 s49, s53, 0
	s_add_u32 s42, s42, s47
	s_addc_u32 s47, 0, s49
	s_mul_i32 s50, s42, 15
	s_mul_hi_u32 s49, s42, 15
	s_mul_i32 s47, s47, 15
	v_mov_b32_e32 v39, s50
	s_add_i32 s49, s49, s47
	v_sub_co_u32_e32 v39, vcc, s8, v39
	s_cmp_lg_u64 vcc, 0
	v_subrev_co_u32_e32 v40, vcc, 15, v39
	s_subb_u32 s47, s9, s49
	s_cmp_lg_u64 vcc, 0
	v_readfirstlane_b32 s49, v40
	s_subb_u32 s50, s47, 0
	s_cmp_gt_u32 s49, 14
	s_cselect_b32 s49, -1, 0
	s_cmp_eq_u32 s50, 0
	s_cselect_b32 s49, s49, -1
	s_add_i32 s50, s42, 1
	s_add_i32 s57, s42, 2
	s_cmp_lg_u32 s49, 0
	s_cselect_b32 s49, s57, s50
	v_readfirstlane_b32 s50, v39
	s_cmp_gt_u32 s50, 14
	s_cselect_b32 s50, -1, 0
	s_cmp_eq_u32 s47, 0
	s_cselect_b32 s50, s50, -1
	s_cmp_lg_u32 s50, 0
	s_mul_hi_u32 s51, s10, s68
	s_cselect_b32 s42, s49, s42
	;; [unrolled: 41-line block ×7, first 2 shown]
	s_mul_i32 s75, s20, s40
	s_mul_hi_u32 s76, s20, s40
	s_add_u32 s72, s72, s75
	s_mul_i32 s71, s21, s68
	s_addc_u32 s76, 0, s76
	s_mul_hi_u32 s70, s21, s68
	s_add_u32 s71, s72, s71
	s_mul_hi_u32 s75, s21, s40
	s_addc_u32 s70, s76, s70
	s_mul_i32 s71, s21, s40
	s_addc_u32 s72, s75, 0
	s_add_u32 s70, s70, s71
	s_addc_u32 s71, 0, s72
	s_mul_i32 s75, s70, 15
	s_mul_hi_u32 s72, s70, 15
	s_mul_i32 s71, s71, 15
	v_mov_b32_e32 v39, s75
	s_add_i32 s72, s72, s71
	v_sub_co_u32_e32 v39, vcc, s20, v39
	s_cmp_lg_u64 vcc, 0
	v_subrev_co_u32_e32 v40, vcc, 15, v39
	s_subb_u32 s71, s21, s72
	s_cmp_lg_u64 vcc, 0
	v_readfirstlane_b32 s72, v40
	s_subb_u32 s75, s71, 0
	s_cmp_gt_u32 s72, 14
	s_cselect_b32 s72, -1, 0
	s_cmp_eq_u32 s75, 0
	s_cselect_b32 s72, s72, -1
	s_add_i32 s75, s70, 1
	s_add_i32 s76, s70, 2
	s_cmp_lg_u32 s72, 0
	s_cselect_b32 s75, s76, s75
	v_readfirstlane_b32 s76, v39
	s_cmp_gt_u32 s76, 14
	s_cselect_b32 s76, -1, 0
	s_cmp_eq_u32 s71, 0
	s_cselect_b32 s76, s76, -1
	s_mul_hi_u32 s66, s22, s68
	s_mul_i32 s71, s22, s40
	s_cmp_lg_u32 s76, 0
	s_mul_hi_u32 s72, s22, s40
	s_cselect_b32 s70, s75, s70
	s_add_u32 s66, s66, s71
	s_mul_i32 s64, s23, s68
	s_addc_u32 s72, 0, s72
	s_mul_hi_u32 s62, s23, s68
	s_add_u32 s64, s66, s64
	s_mul_hi_u32 s76, s23, s40
	s_addc_u32 s62, s72, s62
	s_mul_i32 s75, s23, s40
	s_addc_u32 s66, s76, 0
	s_add_u32 s62, s62, s75
	s_addc_u32 s66, 0, s66
	s_mul_i32 s75, s62, 15
	s_mul_hi_u32 s72, s62, 15
	s_mul_i32 s66, s66, 15
	v_mov_b32_e32 v39, s75
	s_add_i32 s72, s72, s66
	v_sub_co_u32_e32 v39, vcc, s22, v39
	s_cmp_lg_u64 vcc, 0
	v_subrev_co_u32_e32 v40, vcc, 15, v39
	s_subb_u32 s66, s23, s72
	s_cmp_lg_u64 vcc, 0
	v_readfirstlane_b32 s72, v40
	s_subb_u32 s75, s66, 0
	s_cmp_gt_u32 s72, 14
	s_cselect_b32 s72, -1, 0
	s_cmp_eq_u32 s75, 0
	s_cselect_b32 s72, s72, -1
	s_add_i32 s75, s62, 1
	s_add_i32 s76, s62, 2
	s_cmp_lg_u32 s72, 0
	s_cselect_b32 s75, s76, s75
	v_readfirstlane_b32 s76, v39
	s_cmp_gt_u32 s76, 14
	s_cselect_b32 s76, -1, 0
	s_cmp_eq_u32 s66, 0
	s_cselect_b32 s76, s76, -1
	s_mul_hi_u32 s58, s24, s68
	s_mul_i32 s64, s24, s40
	s_cmp_lg_u32 s76, 0
	s_mul_hi_u32 s71, s24, s40
	s_cselect_b32 s62, s75, s62
	;; [unrolled: 41-line block ×6, first 2 shown]
	s_add_u32 s50, s50, s64
	s_mul_i32 s60, s35, s68
	s_addc_u32 s52, 0, s76
	s_mul_hi_u32 s51, s35, s68
	s_add_u32 s50, s50, s60
	s_mul_hi_u32 s58, s35, s40
	s_addc_u32 s50, s52, s51
	s_mul_i32 s43, s35, s40
	s_addc_u32 s51, s58, 0
	s_add_u32 s43, s50, s43
	s_addc_u32 s50, 0, s51
	s_mul_i32 s52, s43, 15
	s_mul_hi_u32 s51, s43, 15
	s_mul_i32 s50, s50, 15
	v_mov_b32_e32 v39, s52
	s_add_i32 s51, s51, s50
	v_sub_co_u32_e32 v39, vcc, s34, v39
	s_cmp_lg_u64 vcc, 0
	v_subrev_co_u32_e32 v40, vcc, 15, v39
	s_subb_u32 s51, s35, s51
	s_cmp_lg_u64 vcc, 0
	v_readfirstlane_b32 s52, v40
	s_subb_u32 s57, s51, 0
	s_cmp_gt_u32 s52, 14
	s_cselect_b32 s52, -1, 0
	s_cmp_eq_u32 s57, 0
	s_cselect_b32 s52, s52, -1
	s_add_i32 s57, s43, 1
	s_add_i32 s58, s43, 2
	v_readfirstlane_b32 s50, v39
	s_cmp_lg_u32 s52, 0
	s_cselect_b32 s52, s58, s57
	s_cmp_gt_u32 s50, 14
	s_cselect_b32 s50, -1, 0
	s_cmp_eq_u32 s51, 0
	s_cselect_b32 s50, s50, -1
	s_mul_hi_u32 s55, s36, s68
	s_mul_i32 s53, s36, s40
	s_cmp_lg_u32 s50, 0
	s_mul_hi_u32 s66, s36, s40
	s_cselect_b32 s43, s52, s43
	s_add_u32 s50, s55, s53
	s_mul_i32 s63, s37, s68
	s_addc_u32 s51, 0, s66
	s_mul_hi_u32 s61, s37, s68
	s_add_u32 s50, s50, s63
	s_mul_hi_u32 s72, s37, s40
	s_addc_u32 s50, s51, s61
	s_mul_i32 s71, s37, s40
	s_addc_u32 s51, s72, 0
	s_add_u32 s50, s50, s71
	s_addc_u32 s51, 0, s51
	s_mul_i32 s53, s50, 15
	s_mul_hi_u32 s52, s50, 15
	s_mul_i32 s51, s51, 15
	v_mov_b32_e32 v39, s53
	s_add_i32 s52, s52, s51
	v_sub_co_u32_e32 v39, vcc, s36, v39
	s_cmp_lg_u64 vcc, 0
	v_subrev_co_u32_e32 v40, vcc, 15, v39
	s_subb_u32 s52, s37, s52
	s_cmp_lg_u64 vcc, 0
	v_readfirstlane_b32 s53, v40
	s_subb_u32 s55, s52, 0
	s_cmp_gt_u32 s53, 14
	s_cselect_b32 s53, -1, 0
	s_cmp_eq_u32 s55, 0
	s_cselect_b32 s53, s53, -1
	s_add_i32 s55, s50, 1
	s_add_i32 s57, s50, 2
	v_readfirstlane_b32 s51, v39
	s_cmp_lg_u32 s53, 0
	s_cselect_b32 s53, s57, s55
	s_cmp_gt_u32 s51, 14
	s_cselect_b32 s51, -1, 0
	s_cmp_eq_u32 s52, 0
	s_cselect_b32 s51, s51, -1
	s_mul_hi_u32 s65, s6, s68
	s_mul_i32 s46, s6, s40
	s_cmp_lg_u32 s51, 0
	s_mul_hi_u32 s47, s6, s40
	s_cselect_b32 s50, s53, s50
	s_add_u32 s46, s65, s46
	s_mul_hi_u32 s67, s7, s68
	s_mul_i32 s68, s7, s68
	s_addc_u32 s47, 0, s47
	s_add_u32 s46, s46, s68
	s_mul_hi_u32 s56, s7, s40
	s_addc_u32 s46, s47, s67
	s_mul_i32 s40, s7, s40
	s_addc_u32 s47, s56, 0
	s_add_u32 s40, s46, s40
	s_addc_u32 s46, 0, s47
	s_mul_i32 s51, s40, 15
	s_mul_hi_u32 s47, s40, 15
	s_mul_i32 s46, s46, 15
	v_mov_b32_e32 v39, s51
	s_add_i32 s47, s47, s46
	v_sub_co_u32_e32 v39, vcc, s6, v39
	s_cmp_lg_u64 vcc, 0
	v_subrev_co_u32_e32 v40, vcc, 15, v39
	s_subb_u32 s47, s7, s47
	s_cmp_lg_u64 vcc, 0
	v_readfirstlane_b32 s51, v40
	s_subb_u32 s52, s47, 0
	s_cmp_gt_u32 s51, 14
	s_cselect_b32 s51, -1, 0
	s_cmp_eq_u32 s52, 0
	s_cselect_b32 s51, s51, -1
	s_add_i32 s52, s40, 1
	s_add_i32 s53, s40, 2
	v_readfirstlane_b32 s46, v39
	s_cmp_lg_u32 s51, 0
	s_cselect_b32 s51, s53, s52
	s_cmp_gt_u32 s46, 14
	s_cselect_b32 s46, -1, 0
	s_cmp_eq_u32 s47, 0
	s_cselect_b32 s46, s46, -1
	s_cmp_lg_u32 s46, 0
	s_mul_i32 s41, s41, 15
	s_cselect_b32 s40, s51, s40
	s_sub_i32 s41, s6, s41
	s_mul_i32 s40, s40, -15
	s_add_i32 s41, s41, 1
	s_add_i32 s40, s6, s40
	s_mul_i32 s50, s50, 15
	s_add_u32 s4, s4, 1
	s_mul_i32 s43, s43, 15
	s_waitcnt vmcnt(0)
	s_set_gpr_idx_on s40, gpr_idx(DST)
	v_mov_b32_e32 v0, v37
	s_set_gpr_idx_off
	s_addc_u32 s5, s5, 0
	s_sub_i32 s40, s6, s50
	s_mul_i32 s48, s48, 15
	s_set_gpr_idx_on s41, gpr_idx(SRC0)
	v_mov_b32_e32 v37, v0
	s_set_gpr_idx_off
	s_sub_i32 s41, s6, s43
	s_add_i32 s40, s40, 2
	s_mul_i32 s44, s44, 15
	s_sub_i32 s43, s6, s48
	v_fma_f32 v37, v16, v37, 0
	s_add_i32 s41, s41, 3
	s_set_gpr_idx_on s40, gpr_idx(SRC0)
	v_mov_b32_e32 v39, v0
	s_set_gpr_idx_off
	s_mul_i32 s45, s45, 15
	s_sub_i32 s44, s6, s44
	s_add_i32 s43, s43, 4
	v_fmac_f32_e32 v37, v17, v39
	s_set_gpr_idx_on s41, gpr_idx(SRC0)
	v_mov_b32_e32 v39, v0
	s_set_gpr_idx_off
	s_mul_i32 s54, s54, 15
	s_sub_i32 s45, s6, s45
	s_add_i32 s44, s44, 5
	v_fmac_f32_e32 v37, v18, v39
	;; [unrolled: 7-line block ×8, first 2 shown]
	s_set_gpr_idx_on s50, gpr_idx(SRC0)
	v_mov_b32_e32 v39, v0
	s_set_gpr_idx_off
	s_mul_i32 s42, s42, 15
	s_mul_i32 s49, s49, 15
	s_sub_i32 s53, s6, s59
	s_add_i32 s52, s52, 12
	v_fmac_f32_e32 v37, v25, v39
	s_set_gpr_idx_on s51, gpr_idx(SRC0)
	v_mov_b32_e32 v39, v0
	s_set_gpr_idx_off
	s_sub_i32 s49, s6, s49
	s_sub_i32 s42, s6, s42
	s_add_i32 s53, s53, 13
	v_fmac_f32_e32 v37, v26, v39
	s_set_gpr_idx_on s52, gpr_idx(SRC0)
	v_mov_b32_e32 v39, v0
	s_set_gpr_idx_off
	s_add_i32 s49, s49, 14
	s_add_i32 s42, s42, 15
	v_fmac_f32_e32 v37, v27, v39
	s_set_gpr_idx_on s53, gpr_idx(SRC0)
	v_mov_b32_e32 v39, v0
	s_set_gpr_idx_off
	s_add_u32 s6, s6, 1
	v_fmac_f32_e32 v37, v28, v39
	s_set_gpr_idx_on s49, gpr_idx(SRC0)
	v_mov_b32_e32 v39, v0
	s_set_gpr_idx_off
	s_addc_u32 s7, s7, 0
	v_fmac_f32_e32 v37, v29, v39
	s_set_gpr_idx_on s42, gpr_idx(SRC0)
	v_mov_b32_e32 v39, v0
	s_set_gpr_idx_off
	s_add_u32 s8, s8, 1
	v_fmac_f32_e32 v37, v30, v39
	s_addc_u32 s9, s9, 0
	v_add_f32_e32 v37, v31, v37
	s_add_u32 s10, s10, 1
	v_mul_f32_e32 v39, 0xbfb8aa3b, v37
	s_addc_u32 s11, s11, 0
	v_fma_f32 v40, v37, s33, -v39
	v_rndne_f32_e32 v41, v39
	s_add_u32 s12, s12, 1
	v_fmac_f32_e32 v40, 0xb2a5705f, v37
	v_sub_f32_e32 v39, v39, v41
	s_addc_u32 s13, s13, 0
	v_add_f32_e32 v39, v39, v40
	s_add_u32 s14, s14, 1
	v_cvt_i32_f32_e32 v41, v41
	v_exp_f32_e32 v39, v39
	s_addc_u32 s15, s15, 0
	s_add_u32 s16, s16, 1
	s_addc_u32 s17, s17, 0
	s_add_u32 s18, s18, 1
	v_ldexp_f32 v39, v39, v41
	v_cmp_nlt_f32_e32 vcc, s38, v37
	s_addc_u32 s19, s19, 0
	v_cndmask_b32_e32 v39, 0, v39, vcc
	v_cmp_ngt_f32_e32 vcc, s39, v37
	s_add_u32 s20, s20, 1
	v_cndmask_b32_e32 v39, v36, v39, vcc
	s_addc_u32 s21, s21, 0
	v_add_f32_e32 v39, 1.0, v39
	s_add_u32 s22, s22, 1
	v_div_scale_f32 v40, s[40:41], v39, v39, v37
	s_addc_u32 s23, s23, 0
	v_rcp_f32_e32 v42, v40
	s_add_u32 s24, s24, 1
	s_addc_u32 s25, s25, 0
	s_add_u32 s26, s26, 1
	s_addc_u32 s27, s27, 0
	v_fma_f32 v43, -v40, v42, 1.0
	s_add_u32 s28, s28, 1
	v_div_scale_f32 v41, vcc, v37, v39, v37
	v_fmac_f32_e32 v42, v43, v42
	s_addc_u32 s29, s29, 0
	v_mul_f32_e32 v43, v41, v42
	s_add_u32 s30, s30, 1
	v_fma_f32 v44, -v40, v43, v41
	s_addc_u32 s31, s31, 0
	v_fmac_f32_e32 v43, v44, v42
	s_add_u32 s34, s34, 1
	v_fma_f32 v40, -v40, v43, v41
	s_addc_u32 s35, s35, 0
	v_div_fmas_f32 v40, v40, v42, v43
	s_add_u32 s36, s36, 1
	v_div_fixup_f32 v37, v40, v39, v37
	v_mov_b32_e32 v38, s3
	s_addc_u32 s37, s37, 0
	global_store_dword v[34:35], v37, off
	v_add_co_u32_e32 v34, vcc, s2, v34
	s_cmp_eq_u64 s[0:1], s[6:7]
	v_addc_co_u32_e32 v35, vcc, v35, v38, vcc
	s_cbranch_scc0 .LBB8_5
.LBB8_6:
	s_endpgm
	.section	.rodata,"a",@progbits
	.p2align	6, 0x0
	.amdhsa_kernel _ZL12ssm_conv_f32ILb1ELm128ELm15EEvPKfS1_S1_iiiiPfiiil
		.amdhsa_group_segment_fixed_size 0
		.amdhsa_private_segment_fixed_size 0
		.amdhsa_kernarg_size 72
		.amdhsa_user_sgpr_count 6
		.amdhsa_user_sgpr_private_segment_buffer 1
		.amdhsa_user_sgpr_dispatch_ptr 0
		.amdhsa_user_sgpr_queue_ptr 0
		.amdhsa_user_sgpr_kernarg_segment_ptr 1
		.amdhsa_user_sgpr_dispatch_id 0
		.amdhsa_user_sgpr_flat_scratch_init 0
		.amdhsa_user_sgpr_kernarg_preload_length 0
		.amdhsa_user_sgpr_kernarg_preload_offset 0
		.amdhsa_user_sgpr_private_segment_size 0
		.amdhsa_uses_dynamic_stack 0
		.amdhsa_system_sgpr_private_segment_wavefront_offset 0
		.amdhsa_system_sgpr_workgroup_id_x 1
		.amdhsa_system_sgpr_workgroup_id_y 1
		.amdhsa_system_sgpr_workgroup_id_z 0
		.amdhsa_system_sgpr_workgroup_info 0
		.amdhsa_system_vgpr_workitem_id 0
		.amdhsa_next_free_vgpr 45
		.amdhsa_next_free_sgpr 78
		.amdhsa_accum_offset 48
		.amdhsa_reserve_vcc 1
		.amdhsa_reserve_flat_scratch 0
		.amdhsa_float_round_mode_32 0
		.amdhsa_float_round_mode_16_64 0
		.amdhsa_float_denorm_mode_32 3
		.amdhsa_float_denorm_mode_16_64 3
		.amdhsa_dx10_clamp 1
		.amdhsa_ieee_mode 1
		.amdhsa_fp16_overflow 0
		.amdhsa_tg_split 0
		.amdhsa_exception_fp_ieee_invalid_op 0
		.amdhsa_exception_fp_denorm_src 0
		.amdhsa_exception_fp_ieee_div_zero 0
		.amdhsa_exception_fp_ieee_overflow 0
		.amdhsa_exception_fp_ieee_underflow 0
		.amdhsa_exception_fp_ieee_inexact 0
		.amdhsa_exception_int_div_zero 0
	.end_amdhsa_kernel
	.section	.text._ZL12ssm_conv_f32ILb1ELm128ELm15EEvPKfS1_S1_iiiiPfiiil,"axG",@progbits,_ZL12ssm_conv_f32ILb1ELm128ELm15EEvPKfS1_S1_iiiiPfiiil,comdat
.Lfunc_end8:
	.size	_ZL12ssm_conv_f32ILb1ELm128ELm15EEvPKfS1_S1_iiiiPfiiil, .Lfunc_end8-_ZL12ssm_conv_f32ILb1ELm128ELm15EEvPKfS1_S1_iiiiPfiiil
                                        ; -- End function
	.section	.AMDGPU.csdata,"",@progbits
; Kernel info:
; codeLenInByte = 4400
; NumSgprs: 82
; NumVgprs: 45
; NumAgprs: 0
; TotalNumVgprs: 45
; ScratchSize: 0
; MemoryBound: 0
; FloatMode: 240
; IeeeMode: 1
; LDSByteSize: 0 bytes/workgroup (compile time only)
; SGPRBlocks: 10
; VGPRBlocks: 5
; NumSGPRsForWavesPerEU: 82
; NumVGPRsForWavesPerEU: 45
; AccumOffset: 48
; Occupancy: 8
; WaveLimiterHint : 0
; COMPUTE_PGM_RSRC2:SCRATCH_EN: 0
; COMPUTE_PGM_RSRC2:USER_SGPR: 6
; COMPUTE_PGM_RSRC2:TRAP_HANDLER: 0
; COMPUTE_PGM_RSRC2:TGID_X_EN: 1
; COMPUTE_PGM_RSRC2:TGID_Y_EN: 1
; COMPUTE_PGM_RSRC2:TGID_Z_EN: 0
; COMPUTE_PGM_RSRC2:TIDIG_COMP_CNT: 0
; COMPUTE_PGM_RSRC3_GFX90A:ACCUM_OFFSET: 11
; COMPUTE_PGM_RSRC3_GFX90A:TG_SPLIT: 0
	.section	.text._ZL23ssm_conv_long_token_f32ILb1ELm128ELm15ELl32EEvPKfS1_S1_iiiiPfiiil,"axG",@progbits,_ZL23ssm_conv_long_token_f32ILb1ELm128ELm15ELl32EEvPKfS1_S1_iiiiPfiiil,comdat
	.globl	_ZL23ssm_conv_long_token_f32ILb1ELm128ELm15ELl32EEvPKfS1_S1_iiiiPfiiil ; -- Begin function _ZL23ssm_conv_long_token_f32ILb1ELm128ELm15ELl32EEvPKfS1_S1_iiiiPfiiil
	.p2align	8
	.type	_ZL23ssm_conv_long_token_f32ILb1ELm128ELm15ELl32EEvPKfS1_S1_iiiiPfiiil,@function
_ZL23ssm_conv_long_token_f32ILb1ELm128ELm15ELl32EEvPKfS1_S1_iiiiPfiiil: ; @_ZL23ssm_conv_long_token_f32ILb1ELm128ELm15ELl32EEvPKfS1_S1_iiiiPfiiil
; %bb.0:
	s_load_dwordx4 s[0:3], s[4:5], 0x18
	s_load_dwordx2 s[12:13], s[4:5], 0x0
	s_mov_b32 s10, s7
	v_mov_b32_e32 v1, s10
	s_waitcnt lgkmcnt(0)
	s_mul_i32 s2, s6, s2
	s_ashr_i32 s7, s2, 31
	s_add_u32 s2, s12, s2
	s_addc_u32 s7, s13, s7
	s_ashr_i32 s11, s10, 31
	s_lshl_b64 s[12:13], s[10:11], 7
	s_ashr_i32 s9, s1, 31
	s_mul_i32 s9, s12, s9
	s_mul_hi_u32 s10, s12, s1
	v_alignbit_b32 v1, s11, v1, 25
	s_add_i32 s10, s10, s9
	s_mul_i32 s9, s12, s1
	v_mul_lo_u32 v1, v1, s1
	v_mov_b32_e32 v2, s9
	v_add_u32_e32 v1, s10, v1
	v_mov_b32_e32 v3, s7
	v_add_co_u32_e32 v2, vcc, s2, v2
	s_ashr_i32 s9, s8, 31
	v_addc_co_u32_e32 v3, vcc, v3, v1, vcc
	s_lshl_b64 s[14:15], s[8:9], 5
	s_ashr_i32 s2, s0, 31
	v_mov_b32_e32 v1, s8
	v_alignbit_b32 v1, s9, v1, 27
	s_mul_i32 s2, s14, s2
	s_mul_hi_u32 s7, s14, s0
	v_mul_lo_u32 v1, v1, s0
	s_add_i32 s7, s7, s2
	s_mul_i32 s0, s14, s0
	v_add_u32_e32 v4, s7, v1
	v_add_co_u32_e32 v1, vcc, s0, v2
	v_mul_u32_u24_e32 v2, 0x591, v0
	v_lshrrev_b32_e32 v5, 16, v2
	v_mul_lo_u16_e32 v2, 46, v5
	v_addc_co_u32_e32 v3, vcc, v3, v4, vcc
	s_ashr_i32 s2, s1, 2
	v_sub_u16_e32 v4, v0, v2
	v_mad_u64_u32 v[6:7], s[0:1], s2, v5, v[4:5]
	v_ashrrev_i32_e32 v7, 31, v6
	v_lshlrev_b64 v[6:7], 2, v[6:7]
	v_or_b32_e32 v2, 0xffffff80, v4
	v_add_co_u32_e32 v8, vcc, v1, v6
	v_lshrrev_b16_e32 v6, 1, v2
	v_and_b32_e32 v6, 0x7f, v6
	v_mul_lo_u16_e32 v6, 0xb3, v6
	v_lshrrev_b16_e32 v6, 12, v6
	v_add_u32_e32 v15, v5, v6
	v_mul_lo_u16_e32 v6, 46, v6
	v_sub_u16_e32 v12, v2, v6
	v_and_b32_e32 v2, 0xff, v12
	v_addc_co_u32_e32 v9, vcc, v3, v7, vcc
	v_mad_u64_u32 v[6:7], s[0:1], v15, s2, v[2:3]
	v_ashrrev_i32_e32 v7, 31, v6
	v_lshlrev_b64 v[6:7], 2, v[6:7]
	v_add_co_u32_e32 v10, vcc, v1, v6
	v_or_b32_e32 v6, 0xffffff80, v12
	v_addc_co_u32_e32 v11, vcc, v3, v7, vcc
	v_lshrrev_b16_e32 v7, 1, v6
	v_and_b32_e32 v7, 0x7f, v7
	v_mul_lo_u16_e32 v7, 0xb3, v7
	v_lshrrev_b16_e32 v7, 12, v7
	v_add_u32_e32 v19, v15, v7
	v_mul_lo_u16_e32 v7, 46, v7
	v_sub_u16_e32 v7, v6, v7
	v_and_b32_e32 v6, 0xff, v7
	v_mad_u64_u32 v[12:13], s[0:1], v19, s2, v[6:7]
	v_or_b32_e32 v7, 0xffffff80, v7
	v_lshrrev_b16_e32 v14, 1, v7
	v_and_b32_e32 v14, 0x7f, v14
	v_mul_lo_u16_e32 v14, 0xb3, v14
	v_lshrrev_b16_e32 v14, 12, v14
	v_add_u32_e32 v22, v19, v14
	v_mul_lo_u16_e32 v14, 46, v14
	v_sub_u16_e32 v7, v7, v14
	v_and_b32_e32 v14, 0xff, v7
	v_or_b32_e32 v7, 0xffffff80, v7
	v_lshrrev_b16_e32 v18, 1, v7
	v_and_b32_e32 v18, 0x7f, v18
	v_mul_lo_u16_e32 v18, 0xb3, v18
	v_lshrrev_b16_e32 v18, 12, v18
	v_ashrrev_i32_e32 v13, 31, v12
	v_add_u32_e32 v23, v22, v18
	v_mul_lo_u16_e32 v18, 46, v18
	v_lshlrev_b64 v[12:13], 2, v[12:13]
	v_mad_u64_u32 v[16:17], s[0:1], v22, s2, v[14:15]
	v_sub_u16_e32 v7, v7, v18
	v_add_co_u32_e32 v12, vcc, v1, v12
	v_ashrrev_i32_e32 v17, 31, v16
	v_and_b32_e32 v18, 0xff, v7
	v_addc_co_u32_e32 v13, vcc, v3, v13, vcc
	v_lshlrev_b64 v[16:17], 2, v[16:17]
	v_mad_u64_u32 v[20:21], s[0:1], v23, s2, v[18:19]
	v_add_co_u32_e32 v16, vcc, v1, v16
	v_ashrrev_i32_e32 v21, 31, v20
	v_addc_co_u32_e32 v17, vcc, v3, v17, vcc
	v_lshlrev_b64 v[20:21], 2, v[20:21]
	v_add_co_u32_e32 v20, vcc, v1, v20
	v_or_b32_e32 v7, 0xffffff80, v7
	v_addc_co_u32_e32 v21, vcc, v3, v21, vcc
	global_load_dword v24, v[8:9], off
	global_load_dword v25, v[10:11], off
	;; [unrolled: 1-line block ×5, first 2 shown]
	v_lshrrev_b16_e32 v8, 1, v7
	v_and_b32_e32 v8, 0x7f, v8
	v_mul_lo_u16_e32 v8, 0xb3, v8
	v_lshrrev_b16_e32 v8, 12, v8
	v_add_u32_e32 v9, v23, v8
	v_mul_lo_u16_e32 v8, 46, v8
	v_sub_u16_e32 v7, v7, v8
	v_and_b32_e32 v8, 0xff, v7
	v_mad_u64_u32 v[10:11], s[0:1], v9, s2, v[8:9]
	v_ashrrev_i32_e32 v11, 31, v10
	v_lshlrev_b64 v[10:11], 2, v[10:11]
	v_add_co_u32_e32 v10, vcc, v1, v10
	v_addc_co_u32_e32 v11, vcc, v3, v11, vcc
	global_load_dword v11, v[10:11], off
	v_mad_u32_u24 v4, v5, 46, v4
	v_lshl_add_u32 v20, v4, 2, 0
	v_or_b32_e32 v4, 0xffffff80, v7
	v_lshrrev_b16_e32 v5, 1, v4
	v_and_b32_e32 v5, 0x7f, v5
	v_mul_lo_u16_e32 v5, 0xb3, v5
	v_lshrrev_b16_e32 v5, 12, v5
	v_add_u32_e32 v7, v9, v5
	v_mul_lo_u16_e32 v5, 46, v5
	v_sub_u16_e32 v16, v4, v5
	v_and_b32_e32 v10, 0xff, v16
	v_mad_u32_u24 v2, v15, 46, v2
	v_lshl_add_u32 v2, v2, 2, 0
	s_movk_i32 s7, 0x80
	s_waitcnt vmcnt(0)
	v_mad_u64_u32 v[4:5], s[0:1], v7, s2, v[10:11]
	v_ashrrev_i32_e32 v5, 31, v4
	v_lshlrev_b64 v[4:5], 2, v[4:5]
	v_add_co_u32_e32 v12, vcc, v1, v4
	v_or_b32_e32 v4, 0xffffff80, v16
	v_addc_co_u32_e32 v13, vcc, v3, v5, vcc
	v_lshrrev_b16_e32 v5, 1, v4
	v_and_b32_e32 v5, 0x7f, v5
	v_mul_lo_u16_e32 v5, 0xb3, v5
	v_lshrrev_b16_e32 v5, 12, v5
	v_add_u32_e32 v29, v7, v5
	v_mul_lo_u16_e32 v5, 46, v5
	v_sub_u16_e32 v5, v4, v5
	v_and_b32_e32 v4, 0xff, v5
	v_mad_u64_u32 v[16:17], s[0:1], v29, s2, v[4:5]
	v_ashrrev_i32_e32 v17, 31, v16
	v_lshlrev_b64 v[16:17], 2, v[16:17]
	v_add_co_u32_e32 v16, vcc, v1, v16
	v_addc_co_u32_e32 v17, vcc, v3, v17, vcc
	global_load_dword v30, v[12:13], off
	global_load_dword v31, v[16:17], off
	ds_write_b32 v20, v24
	ds_write_b32 v2, v25
	v_mad_u32_u24 v2, v19, 46, v6
	v_lshl_add_u32 v2, v2, 2, 0
	ds_write_b32 v2, v26
	v_mad_u32_u24 v2, v22, 46, v14
	v_lshl_add_u32 v2, v2, 2, 0
	;; [unrolled: 3-line block ×4, first 2 shown]
	ds_write_b32 v2, v11
	v_or_b32_e32 v2, 0xffffff80, v5
	v_lshrrev_b16_e32 v5, 1, v2
	v_and_b32_e32 v5, 0x7f, v5
	v_mul_lo_u16_e32 v5, 0xb3, v5
	v_mad_u64_u32 v[6:7], s[0:1], v7, 46, v[10:11]
	v_lshrrev_b16_e32 v5, 12, v5
	v_add_u32_e32 v7, v29, v5
	v_mul_lo_u16_e32 v5, 46, v5
	v_sub_u16_e32 v5, v2, v5
	v_and_b32_e32 v2, 0xff, v5
	v_mad_u64_u32 v[8:9], s[0:1], v7, s2, v[2:3]
	v_ashrrev_i32_e32 v9, 31, v8
	v_lshlrev_b64 v[8:9], 2, v[8:9]
	v_or_b32_e32 v5, 0xffffff80, v5
	v_add_co_u32_e32 v14, vcc, v1, v8
	v_lshrrev_b16_e32 v8, 1, v5
	v_and_b32_e32 v8, 0x7f, v8
	v_mul_lo_u16_e32 v8, 0xb3, v8
	v_lshrrev_b16_e32 v8, 12, v8
	v_add_u32_e32 v24, v7, v8
	v_mul_lo_u16_e32 v8, 46, v8
	v_sub_u16_e32 v5, v5, v8
	v_and_b32_e32 v8, 0xff, v5
	v_or_b32_e32 v5, 0xffffff80, v5
	v_addc_co_u32_e32 v15, vcc, v3, v9, vcc
	v_mad_u64_u32 v[10:11], s[0:1], v24, s2, v[8:9]
	v_lshrrev_b16_e32 v9, 1, v5
	v_and_b32_e32 v9, 0x7f, v9
	v_mul_lo_u16_e32 v9, 0xb3, v9
	v_lshrrev_b16_e32 v9, 12, v9
	v_ashrrev_i32_e32 v11, 31, v10
	v_add_u32_e32 v25, v24, v9
	v_mul_lo_u16_e32 v9, 46, v9
	v_lshlrev_b64 v[10:11], 2, v[10:11]
	v_sub_u16_e32 v5, v5, v9
	v_add_co_u32_e32 v16, vcc, v1, v10
	v_and_b32_e32 v10, 0xff, v5
	v_or_b32_e32 v5, 0xffffff80, v5
	v_mad_u64_u32 v[12:13], s[0:1], v25, s2, v[10:11]
	v_lshrrev_b16_e32 v9, 1, v5
	v_ashrrev_i32_e32 v13, 31, v12
	v_and_b32_e32 v9, 0x7f, v9
	v_addc_co_u32_e32 v17, vcc, v3, v11, vcc
	v_lshlrev_b64 v[12:13], 2, v[12:13]
	v_mul_lo_u16_e32 v9, 0xb3, v9
	v_add_co_u32_e32 v18, vcc, v1, v12
	v_lshrrev_b16_e32 v9, 12, v9
	v_addc_co_u32_e32 v19, vcc, v3, v13, vcc
	v_add_u32_e32 v13, v25, v9
	v_mul_lo_u16_e32 v9, 46, v9
	v_sub_u16_e32 v5, v5, v9
	v_and_b32_e32 v12, 0xff, v5
	v_or_b32_e32 v5, 0xffffff80, v5
	v_lshrrev_b16_e32 v9, 1, v5
	v_and_b32_e32 v9, 0x7f, v9
	v_mad_u64_u32 v[20:21], s[0:1], v13, s2, v[12:13]
	v_mul_lo_u16_e32 v9, 0xb3, v9
	v_ashrrev_i32_e32 v21, 31, v20
	v_lshrrev_b16_e32 v9, 12, v9
	v_lshlrev_b64 v[20:21], 2, v[20:21]
	v_add_u32_e32 v33, v13, v9
	v_mul_lo_u16_e32 v9, 46, v9
	v_add_co_u32_e32 v20, vcc, v1, v20
	v_sub_u16_e32 v9, v5, v9
	v_lshl_add_u32 v5, v6, 2, 0
	v_addc_co_u32_e32 v21, vcc, v3, v21, vcc
	global_load_dword v26, v[14:15], off
	global_load_dword v27, v[16:17], off
	;; [unrolled: 1-line block ×4, first 2 shown]
	s_waitcnt vmcnt(5)
	ds_write_b32 v5, v30
	v_mad_u64_u32 v[4:5], s[0:1], v29, 46, v[4:5]
	v_lshl_add_u32 v4, v4, 2, 0
	s_waitcnt vmcnt(4)
	ds_write_b32 v4, v31
	v_mad_u64_u32 v[4:5], s[0:1], v7, 46, v[2:3]
	v_or_b32_e32 v2, 0xffffff80, v9
	v_lshl_add_u32 v29, v4, 2, 0
	v_lshrrev_b16_e32 v4, 1, v2
	v_and_b32_e32 v4, 0x7f, v4
	v_mul_lo_u16_e32 v4, 0xb3, v4
	v_lshrrev_b16_e32 v4, 12, v4
	v_and_b32_e32 v14, 0xff, v9
	v_add_u32_e32 v5, v33, v4
	v_mul_lo_u16_e32 v4, 46, v4
	v_mad_u64_u32 v[16:17], s[0:1], v33, s2, v[14:15]
	v_sub_u16_e32 v4, v2, v4
	v_ashrrev_i32_e32 v17, 31, v16
	v_and_b32_e32 v2, 0xff, v4
	v_lshlrev_b64 v[16:17], 2, v[16:17]
	v_mad_u64_u32 v[6:7], s[0:1], v5, s2, v[2:3]
	v_add_co_u32_e32 v16, vcc, v1, v16
	v_ashrrev_i32_e32 v7, 31, v6
	v_addc_co_u32_e32 v17, vcc, v3, v17, vcc
	v_lshlrev_b64 v[6:7], 2, v[6:7]
	v_or_b32_e32 v4, 0xffffff80, v4
	global_load_dword v34, v[16:17], off
	v_add_co_u32_e32 v16, vcc, v1, v6
	v_lshrrev_b16_e32 v6, 1, v4
	v_and_b32_e32 v6, 0x7f, v6
	v_mul_lo_u16_e32 v6, 0xb3, v6
	v_lshrrev_b16_e32 v6, 12, v6
	v_addc_co_u32_e32 v17, vcc, v3, v7, vcc
	v_add_u32_e32 v7, v5, v6
	v_mul_lo_u16_e32 v6, 46, v6
	v_sub_u16_e32 v6, v4, v6
	v_and_b32_e32 v4, 0xff, v6
	v_or_b32_e32 v6, 0xffffff80, v6
	v_lshrrev_b16_e32 v9, 1, v6
	v_and_b32_e32 v9, 0x7f, v9
	v_mul_lo_u16_e32 v9, 0xb3, v9
	v_mad_u64_u32 v[18:19], s[0:1], v7, s2, v[4:5]
	v_lshrrev_b16_e32 v11, 12, v9
	v_ashrrev_i32_e32 v19, 31, v18
	v_add_u32_e32 v9, v7, v11
	v_mul_lo_u16_e32 v11, 46, v11
	v_lshlrev_b64 v[18:19], 2, v[18:19]
	v_sub_u16_e32 v30, v6, v11
	v_add_co_u32_e32 v20, vcc, v1, v18
	v_and_b32_e32 v6, 0xff, v30
	v_addc_co_u32_e32 v21, vcc, v3, v19, vcc
	v_mad_u64_u32 v[18:19], s[0:1], v9, s2, v[6:7]
	v_ashrrev_i32_e32 v19, 31, v18
	v_lshlrev_b64 v[18:19], 2, v[18:19]
	v_add_co_u32_e32 v22, vcc, v1, v18
	v_addc_co_u32_e32 v23, vcc, v3, v19, vcc
	global_load_dword v19, v[16:17], off
	global_load_dword v11, v[20:21], off
	;; [unrolled: 1-line block ×3, first 2 shown]
	v_mad_u64_u32 v[16:17], s[0:1], v24, 46, v[8:9]
	v_lshl_add_u32 v8, v16, 2, 0
	v_mad_u64_u32 v[12:13], s[0:1], v13, 46, v[12:13]
	s_waitcnt vmcnt(7)
	ds_write_b32 v29, v26
	s_waitcnt vmcnt(6)
	ds_write_b32 v8, v27
	s_waitcnt vmcnt(1)
	v_mad_u64_u32 v[16:17], s[0:1], v25, 46, v[10:11]
	v_lshl_add_u32 v8, v16, 2, 0
	ds_write_b32 v8, v28
	v_lshl_add_u32 v8, v12, 2, 0
	s_waitcnt vmcnt(0)
	v_mad_u64_u32 v[12:13], s[0:1], v33, 46, v[14:15]
	ds_write_b32 v8, v32
	v_lshl_add_u32 v8, v12, 2, 0
	ds_write_b32 v8, v34
	v_or_b32_e32 v8, 0xffffff80, v30
	v_lshrrev_b16_e32 v10, 1, v8
	v_and_b32_e32 v10, 0x7f, v10
	v_mul_lo_u16_e32 v10, 0xb3, v10
	v_lshrrev_b16_e32 v10, 12, v10
	v_add_u32_e32 v23, v9, v10
	v_mul_lo_u16_e32 v10, 46, v10
	v_sub_u16_e32 v10, v8, v10
	v_and_b32_e32 v8, 0xff, v10
	v_or_b32_e32 v10, 0xffffff80, v10
	v_lshrrev_b16_e32 v14, 1, v10
	v_and_b32_e32 v14, 0x7f, v14
	v_mul_lo_u16_e32 v14, 0xb3, v14
	v_lshrrev_b16_e32 v14, 12, v14
	v_add_u32_e32 v27, v23, v14
	v_mul_lo_u16_e32 v14, 46, v14
	v_sub_u16_e32 v14, v10, v14
	v_and_b32_e32 v10, 0xff, v14
	;; [unrolled: 9-line block ×3, first 2 shown]
	v_or_b32_e32 v18, 0xffffff80, v18
	v_lshrrev_b16_e32 v22, 1, v18
	v_and_b32_e32 v22, 0x7f, v22
	v_mul_lo_u16_e32 v22, 0xb3, v22
	v_lshrrev_b16_e32 v22, 12, v22
	v_add_u32_e32 v45, v41, v22
	v_mul_lo_u16_e32 v22, 46, v22
	v_sub_u16_e32 v22, v18, v22
	v_mad_u64_u32 v[12:13], s[0:1], v23, s2, v[8:9]
	v_and_b32_e32 v18, 0xff, v22
	v_or_b32_e32 v22, 0xffffff80, v22
	v_ashrrev_i32_e32 v13, 31, v12
	v_lshrrev_b16_e32 v26, 1, v22
	v_lshlrev_b64 v[12:13], 2, v[12:13]
	v_mad_u64_u32 v[16:17], s[0:1], v27, s2, v[10:11]
	v_and_b32_e32 v26, 0x7f, v26
	v_add_co_u32_e32 v12, vcc, v1, v12
	v_ashrrev_i32_e32 v17, 31, v16
	v_mul_lo_u16_e32 v26, 0xb3, v26
	v_addc_co_u32_e32 v13, vcc, v3, v13, vcc
	v_lshlrev_b64 v[16:17], 2, v[16:17]
	v_mad_u64_u32 v[20:21], s[0:1], v41, s2, v[14:15]
	v_lshrrev_b16_e32 v26, 12, v26
	v_add_co_u32_e32 v16, vcc, v1, v16
	v_ashrrev_i32_e32 v21, 31, v20
	v_add_u32_e32 v49, v45, v26
	v_mul_lo_u16_e32 v26, 46, v26
	v_addc_co_u32_e32 v17, vcc, v3, v17, vcc
	v_lshlrev_b64 v[20:21], 2, v[20:21]
	v_mad_u64_u32 v[24:25], s[0:1], v45, s2, v[18:19]
	v_sub_u16_e32 v26, v22, v26
	v_add_co_u32_e32 v20, vcc, v1, v20
	v_ashrrev_i32_e32 v25, 31, v24
	v_and_b32_e32 v22, 0xff, v26
	v_addc_co_u32_e32 v21, vcc, v3, v21, vcc
	v_lshlrev_b64 v[24:25], 2, v[24:25]
	v_mad_u64_u32 v[28:29], s[0:1], v49, s2, v[22:23]
	v_add_co_u32_e32 v24, vcc, v1, v24
	v_ashrrev_i32_e32 v29, 31, v28
	v_addc_co_u32_e32 v25, vcc, v3, v25, vcc
	v_lshlrev_b64 v[28:29], 2, v[28:29]
	v_or_b32_e32 v26, 0xffffff80, v26
	v_add_co_u32_e32 v30, vcc, v1, v28
	v_lshrrev_b16_e32 v28, 1, v26
	v_and_b32_e32 v28, 0x7f, v28
	v_mul_lo_u16_e32 v28, 0xb3, v28
	v_lshrrev_b16_e32 v28, 12, v28
	v_add_u32_e32 v52, v49, v28
	v_mul_lo_u16_e32 v28, 46, v28
	v_sub_u16_e32 v32, v26, v28
	v_and_b32_e32 v26, 0xff, v32
	v_addc_co_u32_e32 v31, vcc, v3, v29, vcc
	v_mad_u64_u32 v[28:29], s[0:1], v52, s2, v[26:27]
	v_ashrrev_i32_e32 v29, 31, v28
	v_lshlrev_b64 v[28:29], 2, v[28:29]
	v_add_co_u32_e32 v34, vcc, v1, v28
	v_or_b32_e32 v28, 0xffffff80, v32
	v_addc_co_u32_e32 v35, vcc, v3, v29, vcc
	v_lshrrev_b16_e32 v29, 1, v28
	v_and_b32_e32 v29, 0x7f, v29
	v_mul_lo_u16_e32 v29, 0xb3, v29
	v_lshrrev_b16_e32 v29, 12, v29
	v_add_u32_e32 v53, v52, v29
	v_mul_lo_u16_e32 v29, 46, v29
	v_sub_u16_e32 v29, v28, v29
	v_and_b32_e32 v28, 0xff, v29
	v_mad_u64_u32 v[32:33], s[0:1], v53, s2, v[28:29]
	v_ashrrev_i32_e32 v33, 31, v32
	v_lshlrev_b64 v[32:33], 2, v[32:33]
	v_or_b32_e32 v29, 0xffffff80, v29
	v_add_co_u32_e32 v36, vcc, v1, v32
	v_lshrrev_b16_e32 v32, 1, v29
	v_and_b32_e32 v32, 0x7f, v32
	v_mul_lo_u16_e32 v32, 0xb3, v32
	v_lshrrev_b16_e32 v32, 12, v32
	v_addc_co_u32_e32 v37, vcc, v3, v33, vcc
	v_add_u32_e32 v33, v53, v32
	v_mul_lo_u16_e32 v32, 46, v32
	v_sub_u16_e32 v29, v29, v32
	v_and_b32_e32 v32, 0xff, v29
	v_or_b32_e32 v29, 0xffffff80, v29
	v_lshrrev_b16_e32 v40, 1, v29
	v_and_b32_e32 v40, 0x7f, v40
	v_mul_lo_u16_e32 v40, 0xb3, v40
	v_lshrrev_b16_e32 v40, 12, v40
	v_add_u32_e32 v54, v33, v40
	v_mul_lo_u16_e32 v40, 46, v40
	v_sub_u16_e32 v29, v29, v40
	v_and_b32_e32 v40, 0xff, v29
	v_or_b32_e32 v29, 0xffffff80, v29
	v_lshrrev_b16_e32 v44, 1, v29
	v_and_b32_e32 v44, 0x7f, v44
	v_mul_lo_u16_e32 v44, 0xb3, v44
	v_lshrrev_b16_e32 v44, 12, v44
	v_mul_lo_u16_e32 v46, 46, v44
	v_sub_u16_e32 v29, v29, v46
	v_add_u32_e32 v55, v54, v44
	v_and_b32_e32 v44, 0xff, v29
	v_or_b32_e32 v29, 0xffffff80, v29
	v_lshrrev_b16_e32 v48, 1, v29
	v_mad_u64_u32 v[38:39], s[0:1], v33, s2, v[32:33]
	v_and_b32_e32 v48, 0x7f, v48
	v_ashrrev_i32_e32 v39, 31, v38
	v_mul_lo_u16_e32 v48, 0xb3, v48
	v_lshlrev_b64 v[38:39], 2, v[38:39]
	v_mad_u64_u32 v[42:43], s[0:1], v54, s2, v[40:41]
	v_lshrrev_b16_e32 v48, 12, v48
	v_add_co_u32_e32 v38, vcc, v1, v38
	v_ashrrev_i32_e32 v43, 31, v42
	v_mul_lo_u16_e32 v50, 46, v48
	v_addc_co_u32_e32 v39, vcc, v3, v39, vcc
	v_lshlrev_b64 v[42:43], 2, v[42:43]
	v_mad_u64_u32 v[46:47], s[0:1], v55, s2, v[44:45]
	v_sub_u16_e32 v29, v29, v50
	v_add_co_u32_e32 v42, vcc, v1, v42
	v_ashrrev_i32_e32 v47, 31, v46
	v_add_u32_e32 v56, v55, v48
	v_and_b32_e32 v48, 0xff, v29
	v_addc_co_u32_e32 v43, vcc, v3, v43, vcc
	v_lshlrev_b64 v[46:47], 2, v[46:47]
	v_mad_u64_u32 v[50:51], s[0:1], v56, s2, v[48:49]
	v_add_co_u32_e32 v46, vcc, v1, v46
	v_ashrrev_i32_e32 v51, 31, v50
	v_addc_co_u32_e32 v47, vcc, v3, v47, vcc
	v_lshlrev_b64 v[50:51], 2, v[50:51]
	v_add_co_u32_e32 v50, vcc, v1, v50
	v_addc_co_u32_e32 v51, vcc, v3, v51, vcc
	global_load_dword v57, v[12:13], off
	global_load_dword v58, v[16:17], off
	;; [unrolled: 1-line block ×7, first 2 shown]
                                        ; kill: killed $vgpr30 killed $vgpr31
                                        ; kill: killed $vgpr16 killed $vgpr17
                                        ; kill: killed $vgpr36 killed $vgpr37
                                        ; kill: killed $vgpr24 killed $vgpr25
                                        ; kill: killed $vgpr12 killed $vgpr13
                                        ; kill: killed $vgpr34 killed $vgpr35
                                        ; kill: killed $vgpr20 killed $vgpr21
	global_load_dword v16, v[38:39], off
	global_load_dword v17, v[42:43], off
	;; [unrolled: 1-line block ×4, first 2 shown]
	v_mad_u64_u32 v[12:13], s[0:1], v5, 46, v[2:3]
	v_lshl_add_u32 v2, v12, 2, 0
	v_mad_u64_u32 v[4:5], s[0:1], v7, 46, v[4:5]
	ds_write_b32 v2, v19
	v_lshl_add_u32 v2, v4, 2, 0
	v_mad_u64_u32 v[4:5], s[0:1], v9, 46, v[6:7]
	ds_write_b32 v2, v11
	;; [unrolled: 3-line block ×3, first 2 shown]
	v_lshl_add_u32 v2, v4, 2, 0
	v_mad_u64_u32 v[4:5], s[0:1], v27, 46, v[10:11]
	s_waitcnt vmcnt(10)
	ds_write_b32 v2, v57
	v_lshl_add_u32 v2, v4, 2, 0
	v_mad_u64_u32 v[4:5], s[0:1], v41, 46, v[14:15]
	s_waitcnt vmcnt(9)
	ds_write_b32 v2, v58
	v_lshl_add_u32 v2, v4, 2, 0
	v_mad_u64_u32 v[4:5], s[0:1], v45, 46, v[18:19]
	s_waitcnt vmcnt(8)
	ds_write_b32 v2, v59
	v_lshl_add_u32 v2, v4, 2, 0
	v_mad_u64_u32 v[4:5], s[0:1], v49, 46, v[22:23]
	s_waitcnt vmcnt(7)
	ds_write_b32 v2, v60
	v_lshl_add_u32 v2, v4, 2, 0
	v_mad_u64_u32 v[4:5], s[0:1], v52, 46, v[26:27]
	s_waitcnt vmcnt(6)
	ds_write_b32 v2, v61
	v_lshl_add_u32 v2, v4, 2, 0
	v_mad_u64_u32 v[4:5], s[0:1], v53, 46, v[28:29]
	s_waitcnt vmcnt(5)
	ds_write_b32 v2, v62
	v_lshl_add_u32 v2, v4, 2, 0
	v_mad_u64_u32 v[4:5], s[0:1], v33, 46, v[32:33]
	s_waitcnt vmcnt(4)
	ds_write_b32 v2, v63
	v_lshl_add_u32 v2, v4, 2, 0
	v_mad_u64_u32 v[4:5], s[0:1], v54, 46, v[40:41]
	s_waitcnt vmcnt(3)
	ds_write_b32 v2, v16
	v_lshl_add_u32 v2, v4, 2, 0
	v_mad_u64_u32 v[4:5], s[0:1], v55, 46, v[44:45]
	s_waitcnt vmcnt(2)
	ds_write_b32 v2, v17
	v_lshl_add_u32 v2, v4, 2, 0
	v_mad_u64_u32 v[4:5], s[0:1], v56, 46, v[48:49]
	s_waitcnt vmcnt(1)
	ds_write_b32 v2, v20
	v_lshl_add_u32 v2, v4, 2, 0
	s_waitcnt vmcnt(0)
	ds_write_b32 v2, v21
	v_or_b32_e32 v2, 0xffffff80, v29
	v_lshrrev_b16_e32 v4, 1, v2
	v_and_b32_e32 v4, 0x7f, v4
	v_mul_lo_u16_e32 v4, 0xb3, v4
	v_lshrrev_b16_e32 v5, 12, v4
	v_add_u32_e32 v4, v56, v5
	v_mul_lo_u16_e32 v5, 46, v5
	v_sub_u16_e32 v2, v2, v5
	v_and_b32_e32 v2, 0xff, v2
	v_cmp_gt_u32_e32 vcc, s7, v4
	s_and_saveexec_b64 s[0:1], vcc
	s_cbranch_execz .LBB9_2
; %bb.1:
	v_mad_u64_u32 v[6:7], s[8:9], v4, s2, v[2:3]
	v_ashrrev_i32_e32 v7, 31, v6
	v_lshlrev_b64 v[6:7], 2, v[6:7]
	v_add_co_u32_e32 v6, vcc, v1, v6
	v_addc_co_u32_e32 v7, vcc, v3, v7, vcc
	global_load_dword v5, v[6:7], off
	v_mad_u64_u32 v[6:7], s[8:9], v4, 46, v[2:3]
	v_lshl_add_u32 v6, v6, 2, 0
	s_waitcnt vmcnt(0)
	ds_write_b32 v6, v5
.LBB9_2:
	s_or_b64 exec, exec, s[0:1]
	v_or_b32_e32 v2, 0xffffff80, v2
	v_lshrrev_b16_e32 v5, 1, v2
	v_and_b32_e32 v5, 0x7f, v5
	v_mul_lo_u16_e32 v5, 0xb3, v5
	v_lshrrev_b16_e32 v5, 12, v5
	v_add_u32_e32 v4, v4, v5
	v_mul_lo_u16_e32 v5, 46, v5
	v_sub_u16_e32 v2, v2, v5
	v_and_b32_e32 v2, 0xff, v2
	v_cmp_gt_u32_e32 vcc, s7, v4
	s_and_saveexec_b64 s[0:1], vcc
	s_cbranch_execz .LBB9_4
; %bb.3:
	v_mad_u64_u32 v[6:7], s[8:9], v4, s2, v[2:3]
	v_ashrrev_i32_e32 v7, 31, v6
	v_lshlrev_b64 v[6:7], 2, v[6:7]
	v_add_co_u32_e32 v6, vcc, v1, v6
	v_addc_co_u32_e32 v7, vcc, v3, v7, vcc
	global_load_dword v5, v[6:7], off
	v_mad_u64_u32 v[6:7], s[8:9], v4, 46, v[2:3]
	v_lshl_add_u32 v6, v6, 2, 0
	s_waitcnt vmcnt(0)
	ds_write_b32 v6, v5
.LBB9_4:
	s_or_b64 exec, exec, s[0:1]
	;; [unrolled: 25-line block ×12, first 2 shown]
	s_load_dwordx4 s[8:11], s[4:5], 0x8
	s_load_dwordx2 s[0:1], s[4:5], 0x28
	s_movk_i32 s7, 0x380
	v_cmp_gt_u32_e32 vcc, s7, v0
	s_and_saveexec_b64 s[16:17], vcc
	s_cbranch_execz .LBB9_45
; %bb.25:
	v_or_b32_e32 v2, 0xffffff80, v2
	v_lshrrev_b16_e32 v5, 1, v2
	v_and_b32_e32 v5, 0x7f, v5
	v_mul_lo_u16_e32 v5, 0xb3, v5
	v_lshrrev_b16_e32 v5, 12, v5
	v_add_u32_e32 v4, v4, v5
	v_mul_lo_u16_e32 v5, 46, v5
	v_sub_u16_e32 v2, v2, v5
	s_movk_i32 s7, 0x80
	v_and_b32_e32 v2, 0xff, v2
	v_cmp_gt_u32_e32 vcc, s7, v4
	s_and_saveexec_b64 s[18:19], vcc
	s_cbranch_execz .LBB9_27
; %bb.26:
	v_mad_u64_u32 v[6:7], s[20:21], v4, s2, v[2:3]
	v_ashrrev_i32_e32 v7, 31, v6
	v_lshlrev_b64 v[6:7], 2, v[6:7]
	v_add_co_u32_e32 v6, vcc, v1, v6
	v_addc_co_u32_e32 v7, vcc, v3, v7, vcc
	global_load_dword v5, v[6:7], off
	v_mad_u64_u32 v[6:7], s[20:21], v4, 46, v[2:3]
	v_lshl_add_u32 v6, v6, 2, 0
	s_waitcnt vmcnt(0)
	ds_write_b32 v6, v5
.LBB9_27:
	s_or_b64 exec, exec, s[18:19]
	s_movk_i32 s7, 0x300
	v_cmp_gt_u32_e32 vcc, s7, v0
	s_and_b64 exec, exec, vcc
	s_cbranch_execz .LBB9_45
; %bb.28:
	v_or_b32_e32 v2, 0xffffff80, v2
	v_lshrrev_b16_e32 v5, 1, v2
	v_and_b32_e32 v5, 0x7f, v5
	v_mul_lo_u16_e32 v5, 0xb3, v5
	v_lshrrev_b16_e32 v5, 12, v5
	v_add_u32_e32 v4, v4, v5
	v_mul_lo_u16_e32 v5, 46, v5
	v_sub_u16_e32 v2, v2, v5
	s_movk_i32 s7, 0x80
	v_and_b32_e32 v2, 0xff, v2
	v_cmp_gt_u32_e32 vcc, s7, v4
	s_and_saveexec_b64 s[18:19], vcc
	s_cbranch_execz .LBB9_30
; %bb.29:
	v_mad_u64_u32 v[6:7], s[20:21], v4, s2, v[2:3]
	v_ashrrev_i32_e32 v7, 31, v6
	v_lshlrev_b64 v[6:7], 2, v[6:7]
	v_add_co_u32_e32 v6, vcc, v1, v6
	v_addc_co_u32_e32 v7, vcc, v3, v7, vcc
	global_load_dword v5, v[6:7], off
	v_mad_u64_u32 v[6:7], s[20:21], v4, 46, v[2:3]
	v_lshl_add_u32 v6, v6, 2, 0
	s_waitcnt vmcnt(0)
	ds_write_b32 v6, v5
.LBB9_30:
	s_or_b64 exec, exec, s[18:19]
	s_movk_i32 s7, 0x280
	v_cmp_gt_u32_e32 vcc, s7, v0
	s_and_b64 exec, exec, vcc
	;; [unrolled: 31-line block ×5, first 2 shown]
	s_cbranch_execz .LBB9_45
; %bb.40:
	v_or_b32_e32 v2, 0xffffff80, v2
	v_lshrrev_b16_e32 v5, 1, v2
	v_and_b32_e32 v5, 0x7f, v5
	v_mul_lo_u16_e32 v5, 0xb3, v5
	v_lshrrev_b16_e32 v5, 12, v5
	v_add_u32_e32 v4, v4, v5
	v_mul_lo_u16_e32 v5, 46, v5
	v_sub_u16_e32 v2, v2, v5
	s_movk_i32 s7, 0x80
	v_and_b32_e32 v2, 0xff, v2
	v_cmp_gt_u32_e32 vcc, s7, v4
	s_and_saveexec_b64 s[18:19], vcc
	s_cbranch_execz .LBB9_42
; %bb.41:
	v_mad_u64_u32 v[6:7], s[20:21], v4, s2, v[2:3]
	v_ashrrev_i32_e32 v7, 31, v6
	v_lshlrev_b64 v[6:7], 2, v[6:7]
	v_add_co_u32_e32 v6, vcc, v1, v6
	v_addc_co_u32_e32 v7, vcc, v3, v7, vcc
	global_load_dword v5, v[6:7], off
	v_mad_u64_u32 v[6:7], s[20:21], v4, 46, v[2:3]
	v_lshl_add_u32 v6, v6, 2, 0
	s_waitcnt vmcnt(0)
	ds_write_b32 v6, v5
.LBB9_42:
	s_or_b64 exec, exec, s[18:19]
	v_cmp_gt_u32_e32 vcc, s7, v0
	s_and_b64 exec, exec, vcc
	s_cbranch_execz .LBB9_45
; %bb.43:
	v_or_b32_e32 v5, 0x80, v2
	v_lshrrev_b16_e32 v2, 1, v5
	v_mul_lo_u16_e32 v2, 0xb3, v2
	v_lshrrev_b16_e32 v6, 12, v2
	v_add_u32_e32 v2, v4, v6
	v_cmp_gt_u32_e32 vcc, s7, v2
	s_and_b64 exec, exec, vcc
	s_cbranch_execz .LBB9_45
; %bb.44:
	v_mul_lo_u16_e32 v4, 46, v6
	v_sub_u16_e32 v4, v5, v4
	v_and_b32_e32 v4, 0xff, v4
	v_mad_u64_u32 v[6:7], s[18:19], v2, s2, v[4:5]
	v_ashrrev_i32_e32 v7, 31, v6
	v_lshlrev_b64 v[6:7], 2, v[6:7]
	v_add_co_u32_e32 v6, vcc, v1, v6
	v_addc_co_u32_e32 v7, vcc, v3, v7, vcc
	global_load_dword v1, v[6:7], off
	v_mad_u64_u32 v[2:3], s[18:19], v2, 46, v[4:5]
	v_lshl_add_u32 v2, v2, 2, 0
	s_waitcnt vmcnt(0)
	ds_write_b32 v2, v1
.LBB9_45:
	s_or_b64 exec, exec, s[16:17]
	s_ashr_i32 s2, s3, 31
	s_mul_hi_u32 s7, s12, s3
	s_mul_i32 s2, s12, s2
	s_add_i32 s2, s7, s2
	s_mul_i32 s7, s13, s3
	s_add_i32 s2, s2, s7
	s_mul_i32 s7, s12, s3
	s_waitcnt lgkmcnt(0)
	s_add_u32 s7, s8, s7
	s_addc_u32 s2, s9, s2
	s_ashr_i32 s3, s3, 2
	v_mul_lo_u32 v2, s3, v0
	v_ashrrev_i32_e32 v3, 31, v2
	v_lshlrev_b64 v[2:3], 2, v[2:3]
	v_mov_b32_e32 v1, s2
	v_add_co_u32_e32 v18, vcc, s7, v2
	v_addc_co_u32_e32 v19, vcc, v1, v3, vcc
	s_barrier
	global_load_dwordx3 v[14:16], v[18:19], off offset:48
	global_load_dwordx4 v[10:13], v[18:19], off offset:32
	global_load_dwordx4 v[2:5], v[18:19], off offset:16
	global_load_dwordx4 v[6:9], v[18:19], off
	s_cmp_eq_u64 s[10:11], 0
	v_lshlrev_b32_e32 v50, 2, v0
	s_waitcnt vmcnt(3)
	v_mov_b32_e32 v17, v16
	s_cbranch_scc1 .LBB9_47
; %bb.46:
	s_lshl_b64 s[2:3], s[12:13], 2
	s_add_u32 s2, s10, s2
	s_addc_u32 s3, s11, s3
	global_load_dword v18, v50, s[2:3]
	s_branch .LBB9_48
.LBB9_47:
	v_mov_b32_e32 v18, 0
.LBB9_48:
	s_load_dwordx2 s[2:3], s[4:5], 0x40
	s_waitcnt lgkmcnt(0)
	s_sub_u32 s8, s2, s14
	s_subb_u32 s9, s3, s15
	v_cmp_lt_i64_e64 s[2:3], s[8:9], 1
	s_and_b64 vcc, exec, s[2:3]
	s_cbranch_vccnz .LBB9_56
; %bb.49:
	s_load_dwordx4 s[16:19], s[4:5], 0x30
	s_waitcnt vmcnt(1)
	v_mov_b32_e32 v20, v3
	v_mov_b32_e32 v21, v4
	;; [unrolled: 1-line block ×4, first 2 shown]
	s_waitcnt lgkmcnt(0)
	s_ashr_i32 s2, s17, 31
	s_mul_hi_u32 s3, s14, s17
	s_mul_i32 s2, s14, s2
	s_add_i32 s2, s3, s2
	s_mul_i32 s3, s15, s17
	s_add_i32 s15, s2, s3
	s_ashr_i32 s2, s16, 31
	s_mul_hi_u32 s3, s12, s16
	s_mul_i32 s2, s12, s2
	s_mul_i32 s10, s6, s18
	s_add_i32 s2, s3, s2
	s_mul_i32 s3, s13, s16
	s_ashr_i32 s11, s10, 31
	s_add_i32 s13, s2, s3
	s_ashr_i32 s2, s17, 2
	v_cmp_lt_i64_e64 s[6:7], s[8:9], 32
	s_and_b64 s[6:7], s[6:7], exec
	s_cselect_b32 s7, s9, 0
	s_cselect_b32 s6, s8, 32
	s_mul_i32 s14, s14, s17
	s_mul_i32 s12, s12, s16
	v_cmp_gt_i64_e64 s[16:17], s[6:7], 1
	s_and_b64 s[16:17], s[16:17], exec
	s_cselect_b32 s7, s7, 0
	s_cselect_b32 s6, s6, 1
	s_cmp_eq_u64 s[8:9], 1
	s_cselect_b64 s[8:9], -1, 0
	s_cmp_lg_u32 s2, 1
	s_cselect_b64 s[16:17], -1, 0
	s_or_b64 s[8:9], s[8:9], s[16:17]
	v_mov_b32_e32 v10, v11
	v_mov_b32_e32 v11, v12
	;; [unrolled: 1-line block ×5, first 2 shown]
	s_mov_b32 s5, 0
	v_mul_u32_u24_e32 v51, 46, v0
	s_and_b64 vcc, exec, s[8:9]
	s_cbranch_vccnz .LBB9_53
; %bb.50:
	s_add_u32 s3, s0, s10
	s_addc_u32 s4, s1, s11
	s_add_u32 s3, s3, s14
	v_lshl_add_u32 v53, v51, 2, 0
	s_addc_u32 s4, s4, s15
	ds_read2_b32 v[48:49], v53 offset1:1
	s_add_u32 s3, s3, s12
	s_addc_u32 s4, s4, s13
	v_mov_b32_e32 v1, s4
	v_add_co_u32_e32 v0, vcc, s3, v50
	s_and_b32 s4, s6, 62
	v_addc_co_u32_e32 v1, vcc, 0, v1, vcc
	s_waitcnt vmcnt(0)
	v_mov_b32_e32 v14, v6
	v_mov_b32_e32 v15, v6
	;; [unrolled: 1-line block ×30, first 2 shown]
	s_mov_b32 s3, 0xbfb8aa3b
	s_mov_b32 s16, 0x42ce8ed0
	;; [unrolled: 1-line block ×3, first 2 shown]
	v_mov_b32_e32 v52, 0x7f800000
	s_mov_b64 s[8:9], s[4:5]
.LBB9_51:                               ; =>This Inner Loop Header: Depth=1
	ds_read2_b32 v[54:55], v53 offset0:1 offset1:2
	ds_read2_b32 v[56:57], v53 offset0:3 offset1:4
	s_waitcnt lgkmcnt(2)
	v_pk_fma_f32 v[48:49], v[14:15], v[48:49], 0 op_sel_hi:[1,1,0]
	v_add_u32_e32 v58, 8, v53
	s_add_u32 s8, s8, -2
	s_waitcnt lgkmcnt(1)
	v_pk_fma_f32 v[54:55], v[22:23], v[54:55], v[48:49]
	ds_read2_b32 v[48:49], v53 offset0:2 offset1:3
	s_addc_u32 s9, s9, -1
	s_cmp_lg_u64 s[8:9], 0
	s_waitcnt lgkmcnt(0)
	v_pk_fma_f32 v[54:55], v[24:25], v[48:49], v[54:55]
	v_pk_fma_f32 v[54:55], v[26:27], v[56:57], v[54:55]
	ds_read2_b32 v[56:57], v53 offset0:4 offset1:5
	s_waitcnt lgkmcnt(0)
	v_pk_fma_f32 v[54:55], v[2:3], v[56:57], v[54:55]
	ds_read2_b32 v[56:57], v53 offset0:5 offset1:6
	s_waitcnt lgkmcnt(0)
	;; [unrolled: 3-line block ×11, first 2 shown]
	v_pk_fma_f32 v[54:55], v[46:47], v[56:57], v[54:55]
	v_pk_add_f32 v[54:55], v[18:19], v[54:55]
	v_mul_f32_e32 v53, 0xbfb8aa3b, v55
	v_fma_f32 v56, v55, s3, -v53
	v_rndne_f32_e32 v57, v53
	v_fmac_f32_e32 v56, 0xb2a5705f, v55
	v_sub_f32_e32 v53, v53, v57
	v_add_f32_e32 v53, v53, v56
	v_exp_f32_e32 v53, v53
	v_cvt_i32_f32_e32 v56, v57
	v_cmp_nlt_f32_e32 vcc, s16, v55
	v_ldexp_f32 v53, v53, v56
	v_cndmask_b32_e32 v53, 0, v53, vcc
	v_cmp_ngt_f32_e32 vcc, s17, v55
	v_cndmask_b32_e32 v57, v52, v53, vcc
	v_mul_f32_e32 v53, 0xbfb8aa3b, v54
	v_fma_f32 v56, v54, s3, -v53
	v_rndne_f32_e32 v59, v53
	v_fmac_f32_e32 v56, 0xb2a5705f, v54
	v_sub_f32_e32 v53, v53, v59
	v_add_f32_e32 v53, v53, v56
	v_exp_f32_e32 v53, v53
	v_cvt_i32_f32_e32 v56, v59
	v_cmp_nlt_f32_e32 vcc, s16, v54
	v_ldexp_f32 v53, v53, v56
	v_cndmask_b32_e32 v53, 0, v53, vcc
	v_cmp_ngt_f32_e32 vcc, s17, v54
	v_cndmask_b32_e32 v56, v52, v53, vcc
	v_pk_add_f32 v[56:57], v[56:57], 1.0 op_sel_hi:[1,0]
	v_div_scale_f32 v53, s[18:19], v57, v57, v55
	v_rcp_f32_e32 v59, v53
	v_fma_f32 v60, -v53, v59, 1.0
	v_fmac_f32_e32 v59, v60, v59
	v_div_scale_f32 v60, vcc, v55, v57, v55
	v_mul_f32_e32 v61, v60, v59
	v_fma_f32 v62, -v53, v61, v60
	v_fmac_f32_e32 v61, v62, v59
	v_fma_f32 v53, -v53, v61, v60
	v_div_fmas_f32 v53, v53, v59, v61
	v_div_fixup_f32 v55, v53, v57, v55
	v_div_scale_f32 v53, s[18:19], v56, v56, v54
	v_rcp_f32_e32 v57, v53
	v_fma_f32 v59, -v53, v57, 1.0
	v_fmac_f32_e32 v57, v59, v57
	v_div_scale_f32 v59, vcc, v54, v56, v54
	v_mul_f32_e32 v60, v59, v57
	v_fma_f32 v61, -v53, v60, v59
	v_fmac_f32_e32 v60, v61, v57
	v_fma_f32 v53, -v53, v60, v59
	v_div_fmas_f32 v53, v53, v57, v60
	v_div_fixup_f32 v54, v53, v56, v54
	global_store_dwordx2 v[0:1], v[54:55], off
	v_add_co_u32_e32 v0, vcc, 8, v0
	v_addc_co_u32_e32 v1, vcc, 0, v1, vcc
	v_mov_b32_e32 v53, v58
	s_cbranch_scc1 .LBB9_51
; %bb.52:
	s_cmp_lg_u64 s[6:7], s[4:5]
	s_cselect_b64 s[8:9], -1, 0
	s_and_b64 vcc, exec, s[8:9]
	s_cbranch_vccnz .LBB9_54
	s_branch .LBB9_56
.LBB9_53:
	s_mov_b64 s[4:5], 0
	s_cbranch_execz .LBB9_56
.LBB9_54:
	s_ashr_i32 s3, s2, 31
	s_sub_u32 s6, s4, s6
	s_subb_u32 s7, s5, s7
	s_add_u32 s5, s12, s14
	s_mul_hi_i32 s9, s4, s2
	s_mul_i32 s8, s4, s2
	s_addc_u32 s12, s13, s15
	s_lshl_b64 s[8:9], s[8:9], 2
	s_add_u32 s5, s5, s8
	s_addc_u32 s8, s12, s9
	v_add_u32_e32 v3, s4, v51
	s_add_u32 s0, s0, s10
	v_lshl_add_u32 v22, v3, 2, 0
	s_addc_u32 s1, s1, s11
	ds_read_b32 v14, v22
	s_add_u32 s0, s0, s5
	s_addc_u32 s1, s1, s8
	v_mov_b32_e32 v1, s1
	v_add_co_u32_e32 v0, vcc, s0, v50
	s_lshl_b64 s[2:3], s[2:3], 2
	v_addc_co_u32_e32 v1, vcc, 0, v1, vcc
	s_mov_b32 s4, 0xbfb8aa3b
	s_mov_b32 s5, 0x42ce8ed0
	;; [unrolled: 1-line block ×3, first 2 shown]
	v_mov_b32_e32 v3, 0x7f800000
	v_mov_b32_e32 v19, s3
	s_waitcnt vmcnt(0)
.LBB9_55:                               ; =>This Inner Loop Header: Depth=1
	s_waitcnt lgkmcnt(0)
	v_fma_f32 v23, v6, v14, 0
	ds_read2_b32 v[14:15], v22 offset0:1 offset1:2
	ds_read2_b32 v[24:25], v22 offset0:3 offset1:4
	;; [unrolled: 1-line block ×7, first 2 shown]
	s_waitcnt lgkmcnt(6)
	v_fmac_f32_e32 v23, v7, v14
	v_fmac_f32_e32 v23, v8, v15
	s_waitcnt lgkmcnt(5)
	v_fmac_f32_e32 v23, v9, v24
	s_waitcnt lgkmcnt(4)
	v_pk_mul_f32 v[26:27], v[20:21], v[26:27]
	v_fmac_f32_e32 v23, v2, v25
	v_add_f32_e32 v15, v23, v26
	s_waitcnt lgkmcnt(3)
	v_pk_mul_f32 v[28:29], v[4:5], v[28:29]
	v_add_f32_e32 v15, v15, v27
	v_add_f32_e32 v15, v15, v28
	s_waitcnt lgkmcnt(2)
	v_pk_mul_f32 v[30:31], v[10:11], v[30:31]
	v_add_f32_e32 v15, v15, v29
	;; [unrolled: 4-line block ×4, first 2 shown]
	v_add_f32_e32 v15, v15, v34
	v_add_f32_e32 v15, v15, v35
	;; [unrolled: 1-line block ×3, first 2 shown]
	v_mul_f32_e32 v23, 0xbfb8aa3b, v15
	v_fma_f32 v24, v15, s4, -v23
	v_rndne_f32_e32 v25, v23
	v_fmac_f32_e32 v24, 0xb2a5705f, v15
	v_sub_f32_e32 v23, v23, v25
	v_add_f32_e32 v23, v23, v24
	v_cvt_i32_f32_e32 v25, v25
	v_exp_f32_e32 v23, v23
	v_cmp_nlt_f32_e32 vcc, s5, v15
	s_add_u32 s6, s6, 1
	s_addc_u32 s7, s7, 0
	v_ldexp_f32 v23, v23, v25
	v_cndmask_b32_e32 v23, 0, v23, vcc
	v_cmp_ngt_f32_e32 vcc, s8, v15
	v_cndmask_b32_e32 v23, v3, v23, vcc
	v_add_f32_e32 v23, 1.0, v23
	v_div_scale_f32 v24, s[10:11], v23, v23, v15
	v_rcp_f32_e32 v26, v24
	v_div_scale_f32 v25, vcc, v15, v23, v15
	s_cmp_eq_u64 s[6:7], 0
	v_fma_f32 v27, -v24, v26, 1.0
	v_fmac_f32_e32 v26, v27, v26
	v_mul_f32_e32 v27, v25, v26
	v_fma_f32 v28, -v24, v27, v25
	v_fmac_f32_e32 v27, v28, v26
	v_fma_f32 v24, -v24, v27, v25
	v_div_fmas_f32 v24, v24, v26, v27
	s_cselect_b64 s[0:1], -1, 0
	v_div_fixup_f32 v15, v24, v23, v15
	v_add_u32_e32 v36, 4, v22
	s_andn2_b64 vcc, exec, s[0:1]
	global_store_dword v[0:1], v15, off
	v_add_co_u32_e64 v0, s[0:1], s2, v0
	v_mov_b32_e32 v22, v36
	v_addc_co_u32_e64 v1, s[0:1], v1, v19, s[0:1]
	s_cbranch_vccnz .LBB9_55
.LBB9_56:
	s_endpgm
	.section	.rodata,"a",@progbits
	.p2align	6, 0x0
	.amdhsa_kernel _ZL23ssm_conv_long_token_f32ILb1ELm128ELm15ELl32EEvPKfS1_S1_iiiiPfiiil
		.amdhsa_group_segment_fixed_size 0
		.amdhsa_private_segment_fixed_size 0
		.amdhsa_kernarg_size 72
		.amdhsa_user_sgpr_count 6
		.amdhsa_user_sgpr_private_segment_buffer 1
		.amdhsa_user_sgpr_dispatch_ptr 0
		.amdhsa_user_sgpr_queue_ptr 0
		.amdhsa_user_sgpr_kernarg_segment_ptr 1
		.amdhsa_user_sgpr_dispatch_id 0
		.amdhsa_user_sgpr_flat_scratch_init 0
		.amdhsa_user_sgpr_kernarg_preload_length 0
		.amdhsa_user_sgpr_kernarg_preload_offset 0
		.amdhsa_user_sgpr_private_segment_size 0
		.amdhsa_uses_dynamic_stack 0
		.amdhsa_system_sgpr_private_segment_wavefront_offset 0
		.amdhsa_system_sgpr_workgroup_id_x 1
		.amdhsa_system_sgpr_workgroup_id_y 1
		.amdhsa_system_sgpr_workgroup_id_z 1
		.amdhsa_system_sgpr_workgroup_info 0
		.amdhsa_system_vgpr_workitem_id 0
		.amdhsa_next_free_vgpr 64
		.amdhsa_next_free_sgpr 22
		.amdhsa_accum_offset 64
		.amdhsa_reserve_vcc 1
		.amdhsa_reserve_flat_scratch 0
		.amdhsa_float_round_mode_32 0
		.amdhsa_float_round_mode_16_64 0
		.amdhsa_float_denorm_mode_32 3
		.amdhsa_float_denorm_mode_16_64 3
		.amdhsa_dx10_clamp 1
		.amdhsa_ieee_mode 1
		.amdhsa_fp16_overflow 0
		.amdhsa_tg_split 0
		.amdhsa_exception_fp_ieee_invalid_op 0
		.amdhsa_exception_fp_denorm_src 0
		.amdhsa_exception_fp_ieee_div_zero 0
		.amdhsa_exception_fp_ieee_overflow 0
		.amdhsa_exception_fp_ieee_underflow 0
		.amdhsa_exception_fp_ieee_inexact 0
		.amdhsa_exception_int_div_zero 0
	.end_amdhsa_kernel
	.section	.text._ZL23ssm_conv_long_token_f32ILb1ELm128ELm15ELl32EEvPKfS1_S1_iiiiPfiiil,"axG",@progbits,_ZL23ssm_conv_long_token_f32ILb1ELm128ELm15ELl32EEvPKfS1_S1_iiiiPfiiil,comdat
.Lfunc_end9:
	.size	_ZL23ssm_conv_long_token_f32ILb1ELm128ELm15ELl32EEvPKfS1_S1_iiiiPfiiil, .Lfunc_end9-_ZL23ssm_conv_long_token_f32ILb1ELm128ELm15ELl32EEvPKfS1_S1_iiiiPfiiil
                                        ; -- End function
	.section	.AMDGPU.csdata,"",@progbits
; Kernel info:
; codeLenInByte = 7680
; NumSgprs: 26
; NumVgprs: 64
; NumAgprs: 0
; TotalNumVgprs: 64
; ScratchSize: 0
; MemoryBound: 0
; FloatMode: 240
; IeeeMode: 1
; LDSByteSize: 0 bytes/workgroup (compile time only)
; SGPRBlocks: 3
; VGPRBlocks: 7
; NumSGPRsForWavesPerEU: 26
; NumVGPRsForWavesPerEU: 64
; AccumOffset: 64
; Occupancy: 8
; WaveLimiterHint : 0
; COMPUTE_PGM_RSRC2:SCRATCH_EN: 0
; COMPUTE_PGM_RSRC2:USER_SGPR: 6
; COMPUTE_PGM_RSRC2:TRAP_HANDLER: 0
; COMPUTE_PGM_RSRC2:TGID_X_EN: 1
; COMPUTE_PGM_RSRC2:TGID_Y_EN: 1
; COMPUTE_PGM_RSRC2:TGID_Z_EN: 1
; COMPUTE_PGM_RSRC2:TIDIG_COMP_CNT: 0
; COMPUTE_PGM_RSRC3_GFX90A:ACCUM_OFFSET: 15
; COMPUTE_PGM_RSRC3_GFX90A:TG_SPLIT: 0
	.section	.text._ZL12ssm_conv_f32ILb0ELm128ELm3EEvPKfS1_S1_iiiiPfiiil,"axG",@progbits,_ZL12ssm_conv_f32ILb0ELm128ELm3EEvPKfS1_S1_iiiiPfiiil,comdat
	.globl	_ZL12ssm_conv_f32ILb0ELm128ELm3EEvPKfS1_S1_iiiiPfiiil ; -- Begin function _ZL12ssm_conv_f32ILb0ELm128ELm3EEvPKfS1_S1_iiiiPfiiil
	.p2align	8
	.type	_ZL12ssm_conv_f32ILb0ELm128ELm3EEvPKfS1_S1_iiiiPfiiil,@function
_ZL12ssm_conv_f32ILb0ELm128ELm3EEvPKfS1_S1_iiiiPfiiil: ; @_ZL12ssm_conv_f32ILb0ELm128ELm3EEvPKfS1_S1_iiiiPfiiil
; %bb.0:
	s_load_dwordx2 s[0:1], s[4:5], 0x10
	s_mov_b32 s12, s7
	s_ashr_i32 s13, s7, 31
	s_lshl_b64 s[18:19], s[12:13], 7
	v_lshlrev_b32_e32 v9, 2, v0
	s_waitcnt lgkmcnt(0)
	s_cmp_eq_u64 s[0:1], 0
	s_cbranch_scc1 .LBB10_2
; %bb.1:
	s_lshl_b64 s[2:3], s[18:19], 2
	s_add_u32 s0, s0, s2
	s_addc_u32 s1, s1, s3
	global_load_dword v5, v9, s[0:1]
	s_load_dwordx2 s[16:17], s[4:5], 0x40
	s_waitcnt lgkmcnt(0)
	v_cmp_lt_i64_e64 s[0:1], s[16:17], 1
	s_and_b64 vcc, exec, s[0:1]
	s_cbranch_vccz .LBB10_3
	s_branch .LBB10_6
.LBB10_2:
	v_mov_b32_e32 v5, 0
	s_load_dwordx2 s[16:17], s[4:5], 0x40
	s_waitcnt lgkmcnt(0)
	v_cmp_lt_i64_e64 s[0:1], s[16:17], 1
	s_and_b64 vcc, exec, s[0:1]
	s_cbranch_vccnz .LBB10_6
.LBB10_3:
	s_load_dwordx4 s[8:11], s[4:5], 0x1c
	s_load_dwordx4 s[0:3], s[4:5], 0x0
	v_mov_b32_e32 v1, s12
	v_alignbit_b32 v1, s13, v1, 25
	s_waitcnt lgkmcnt(0)
	s_ashr_i32 s7, s10, 31
	s_mul_hi_u32 s11, s18, s10
	s_mul_i32 s7, s18, s7
	v_mul_lo_u32 v1, v1, s10
	s_add_i32 s11, s11, s7
	s_mul_i32 s7, s18, s10
	s_ashr_i32 s10, s10, 2
	v_mul_lo_u32 v2, s10, v0
	v_mov_b32_e32 v4, s7
	v_add_u32_e32 v1, s11, v1
	v_mov_b32_e32 v6, s3
	v_ashrrev_i32_e32 v3, 31, v2
	v_add_co_u32_e32 v4, vcc, s2, v4
	v_addc_co_u32_e32 v1, vcc, v6, v1, vcc
	v_lshlrev_b64 v[2:3], 2, v[2:3]
	v_add_co_u32_e32 v2, vcc, v4, v2
	v_addc_co_u32_e32 v3, vcc, v1, v3, vcc
	global_load_dwordx3 v[2:4], v[2:3], off
	s_load_dwordx2 s[2:3], s[4:5], 0x28
	s_load_dwordx4 s[12:15], s[4:5], 0x30
	s_ashr_i32 s7, s8, 31
	s_mul_i32 s4, s6, s9
	s_mul_hi_u32 s9, s18, s8
	s_mul_i32 s7, s18, s7
	s_add_i32 s7, s9, s7
	s_mul_i32 s9, s19, s8
	s_add_i32 s7, s7, s9
	s_waitcnt lgkmcnt(0)
	s_mul_i32 s9, s6, s14
	s_ashr_i32 s5, s4, 31
	s_ashr_i32 s10, s9, 31
	s_add_u32 s6, s2, s9
	s_addc_u32 s14, s3, s10
	s_ashr_i32 s11, s12, 31
	s_mul_hi_u32 s20, s18, s12
	s_mul_i32 s11, s18, s11
	s_add_i32 s11, s20, s11
	s_mul_i32 s19, s19, s12
	s_add_i32 s11, s11, s19
	s_mul_i32 s12, s18, s12
	s_mul_i32 s15, s18, s8
	s_add_u32 s18, s6, s12
	s_addc_u32 s19, s14, s11
	s_add_u32 s6, s0, s4
	s_addc_u32 s14, s1, s5
	;; [unrolled: 2-line block ×3, first 2 shown]
	s_ashr_i32 s8, s8, 2
	v_mul_lo_u32 v0, s8, v0
	v_ashrrev_i32_e32 v1, 31, v0
	v_lshlrev_b64 v[0:1], 2, v[0:1]
	v_mov_b32_e32 v7, s14
	v_add_co_u32_e32 v6, vcc, s6, v0
	v_addc_co_u32_e32 v7, vcc, v7, v1, vcc
	global_load_dwordx3 v[6:8], v[6:7], off
	s_cmp_eq_u64 s[16:17], 1
	s_waitcnt vmcnt(0)
	v_fma_f32 v10, v2, v6, 0
	v_fmac_f32_e32 v10, v3, v7
	v_fmac_f32_e32 v10, v4, v8
	v_add_f32_e32 v10, v5, v10
	global_store_dword v9, v10, s[18:19]
	s_cbranch_scc1 .LBB10_6
; %bb.4:
	s_ashr_i32 s18, s13, 2
	s_ashr_i32 s19, s18, 31
	s_add_u32 s0, s0, s4
	s_addc_u32 s1, s1, s5
	s_add_u32 s0, s0, s15
	s_addc_u32 s1, s1, s7
	s_add_u32 s4, s16, -1
	s_addc_u32 s5, s17, -1
	s_lshl_b64 s[6:7], s[18:19], 2
	v_add_co_u32_e32 v0, vcc, s0, v0
	s_add_u32 s0, s12, s6
	v_mov_b32_e32 v10, s1
	s_addc_u32 s1, s11, s7
	s_add_u32 s2, s2, s9
	v_addc_co_u32_e32 v1, vcc, v10, v1, vcc
	s_addc_u32 s3, s3, s10
	v_add_co_u32_e32 v0, vcc, 12, v0
	s_add_u32 s0, s2, s0
	v_addc_co_u32_e32 v1, vcc, 0, v1, vcc
	s_addc_u32 s1, s3, s1
	v_mov_b32_e32 v11, s1
	v_add_co_u32_e32 v10, vcc, s0, v9
	v_addc_co_u32_e32 v11, vcc, 0, v11, vcc
	s_mov_b64 s[8:9], 1
	s_mov_b64 s[10:11], 3
	;; [unrolled: 1-line block ×4, first 2 shown]
	v_mov_b32_e32 v9, s7
.LBB10_5:                               ; =>This Inner Loop Header: Depth=1
	s_add_u32 s0, 0, 0x55500000
	s_addc_u32 s1, 0, 0x155
	s_mul_hi_u32 s3, s0, -3
	s_add_i32 s1, s1, 0x55555400
	s_sub_i32 s3, s3, s0
	s_mul_i32 s17, s1, -3
	s_mul_i32 s2, s0, -3
	s_add_i32 s3, s3, s17
	s_mul_hi_u32 s7, s0, s2
	s_mul_i32 s18, s0, s3
	s_mul_hi_u32 s17, s0, s3
	s_add_u32 s7, s7, s18
	s_mul_hi_u32 s16, s1, s2
	s_mul_i32 s2, s1, s2
	s_addc_u32 s17, 0, s17
	s_add_u32 s2, s7, s2
	s_mul_hi_u32 s19, s1, s3
	s_addc_u32 s2, s17, s16
	global_load_dword v12, v[0:1], off
	s_mul_i32 s3, s1, s3
	s_addc_u32 s7, s19, 0
	v_add_co_u32_e32 v0, vcc, 4, v0
	s_add_u32 s2, s2, s3
	v_addc_co_u32_e32 v1, vcc, 0, v1, vcc
	v_mov_b32_e32 v13, s2
	s_addc_u32 s3, 0, s7
	v_add_co_u32_e32 v13, vcc, s0, v13
	s_cmp_lg_u64 vcc, 0
	v_readfirstlane_b32 s0, v13
	s_addc_u32 s1, s1, s3
	s_mul_hi_u32 s2, s8, s0
	s_mul_i32 s25, s8, s1
	s_mul_hi_u32 s3, s9, s0
	s_mul_i32 s7, s9, s0
	s_mul_hi_u32 s16, s10, s0
	s_mul_hi_u32 s17, s11, s0
	s_mul_i32 s18, s11, s0
	s_mul_hi_u32 s19, s12, s0
	;; [unrolled: 3-line block ×5, first 2 shown]
	s_mul_i32 s29, s10, s1
	s_mul_hi_u32 s30, s11, s1
	s_mul_i32 s31, s11, s1
	s_mul_hi_u32 s33, s12, s1
	;; [unrolled: 2-line block ×5, first 2 shown]
	s_mul_i32 s40, s15, s1
	s_add_u32 s1, s2, s25
	s_addc_u32 s0, 0, s0
	s_add_u32 s1, s1, s7
	s_addc_u32 s0, s0, s3
	s_addc_u32 s1, s26, 0
	s_add_u32 s0, s0, s27
	s_addc_u32 s1, 0, s1
	s_mul_hi_u32 s2, s0, 3
	s_mul_i32 s0, s0, 3
	s_mul_i32 s1, s1, 3
	v_mov_b32_e32 v13, s0
	s_add_i32 s2, s2, s1
	v_sub_co_u32_e32 v13, vcc, s8, v13
	s_cmp_lg_u64 vcc, 0
	v_subrev_co_u32_e32 v14, vcc, 3, v13
	v_cmp_lt_u32_e64 s[0:1], 2, v13
	s_subb_u32 s2, s9, s2
	v_cndmask_b32_e64 v15, 0, -1, s[0:1]
	v_cmp_lt_u32_e64 s[0:1], 2, v14
	s_cmp_lg_u64 vcc, 0
	v_cndmask_b32_e64 v16, 0, -1, s[0:1]
	s_subb_u32 s0, s2, 0
	s_cmp_eq_u32 s0, 0
	s_cselect_b64 vcc, -1, 0
	v_cndmask_b32_e32 v16, -1, v16, vcc
	v_add_u32_e32 v17, -3, v14
	s_cmp_eq_u32 s2, 0
	v_cmp_ne_u32_e32 vcc, 0, v16
	v_cndmask_b32_e32 v14, v14, v17, vcc
	s_cselect_b64 vcc, -1, 0
	s_add_u32 s0, s16, s29
	s_addc_u32 s1, 0, s28
	s_add_u32 s0, s0, s18
	s_addc_u32 s0, s1, s17
	s_addc_u32 s1, s30, 0
	v_cndmask_b32_e32 v15, -1, v15, vcc
	s_add_u32 s0, s0, s31
	v_cmp_ne_u32_e32 vcc, 0, v15
	s_addc_u32 s1, 0, s1
	s_mul_hi_u32 s2, s0, 3
	s_mul_i32 s0, s0, 3
	v_cndmask_b32_e32 v13, v13, v14, vcc
	s_mul_i32 s1, s1, 3
	v_mov_b32_e32 v14, s0
	s_add_i32 s2, s2, s1
	v_sub_co_u32_e32 v14, vcc, s10, v14
	s_cmp_lg_u64 vcc, 0
	v_subrev_co_u32_e32 v15, vcc, 3, v14
	v_cmp_lt_u32_e64 s[0:1], 2, v14
	s_subb_u32 s2, s11, s2
	v_cndmask_b32_e64 v16, 0, -1, s[0:1]
	v_cmp_lt_u32_e64 s[0:1], 2, v15
	s_cmp_lg_u64 vcc, 0
	v_cndmask_b32_e64 v17, 0, -1, s[0:1]
	s_subb_u32 s0, s2, 0
	s_cmp_eq_u32 s0, 0
	s_cselect_b64 vcc, -1, 0
	v_cndmask_b32_e32 v17, -1, v17, vcc
	v_add_u32_e32 v18, -3, v15
	s_cmp_eq_u32 s2, 0
	v_cmp_ne_u32_e32 vcc, 0, v17
	v_cndmask_b32_e32 v15, v15, v18, vcc
	s_cselect_b64 vcc, -1, 0
	s_add_u32 s0, s19, s34
	s_addc_u32 s1, 0, s33
	s_add_u32 s0, s0, s21
	s_addc_u32 s0, s1, s20
	s_addc_u32 s1, s35, 0
	v_cndmask_b32_e32 v16, -1, v16, vcc
	s_add_u32 s0, s0, s36
	v_cmp_ne_u32_e32 vcc, 0, v16
	s_addc_u32 s1, 0, s1
	s_mul_hi_u32 s2, s0, 3
	s_mul_i32 s0, s0, 3
	v_cndmask_b32_e32 v14, v14, v15, vcc
	;; [unrolled: 33-line block ×3, first 2 shown]
	s_mul_i32 s1, s1, 3
	v_mov_b32_e32 v16, s0
	s_add_i32 s2, s2, s1
	v_sub_co_u32_e32 v16, vcc, s14, v16
	s_cmp_lg_u64 vcc, 0
	v_subrev_co_u32_e32 v17, vcc, 3, v16
	v_cmp_lt_u32_e64 s[0:1], 2, v16
	s_subb_u32 s2, s15, s2
	v_cndmask_b32_e64 v18, 0, -1, s[0:1]
	v_cmp_lt_u32_e64 s[0:1], 2, v17
	s_cmp_lg_u64 vcc, 0
	v_cndmask_b32_e64 v19, 0, -1, s[0:1]
	s_subb_u32 s0, s2, 0
	s_cmp_eq_u32 s0, 0
	s_cselect_b64 vcc, -1, 0
	v_cndmask_b32_e32 v19, -1, v19, vcc
	v_add_u32_e32 v20, -3, v17
	s_cmp_eq_u32 s2, 0
	v_cmp_ne_u32_e32 vcc, 0, v19
	v_cndmask_b32_e32 v17, v17, v20, vcc
	s_cselect_b64 vcc, -1, 0
	v_cndmask_b32_e32 v18, -1, v18, vcc
	v_cmp_ne_u32_e32 vcc, 0, v18
	s_add_u32 s8, s8, 1
	v_cndmask_b32_e32 v16, v16, v17, vcc
	s_addc_u32 s9, s9, 0
	v_cmp_eq_u32_e32 vcc, 1, v16
	v_cmp_eq_u32_e64 s[0:1], 0, v16
	v_cmp_eq_u32_e64 s[2:3], 2, v16
	s_add_u32 s10, s10, 1
	s_waitcnt vmcnt(0)
	v_cndmask_b32_e64 v8, v8, v12, s[2:3]
	v_cndmask_b32_e32 v7, v7, v12, vcc
	v_cndmask_b32_e64 v6, v6, v12, s[0:1]
	v_cmp_eq_u32_e64 s[2:3], 1, v13
	v_cmp_eq_u32_e32 vcc, 1, v15
	s_addc_u32 s11, s11, 0
	v_cndmask_b32_e64 v12, v6, v7, s[2:3]
	v_cmp_eq_u32_e64 s[2:3], 2, v13
	v_cmp_eq_u32_e64 s[0:1], 1, v14
	v_cndmask_b32_e32 v16, v6, v7, vcc
	v_cmp_eq_u32_e32 vcc, 2, v15
	s_add_u32 s4, s4, -1
	v_cndmask_b32_e64 v12, v12, v8, s[2:3]
	v_cndmask_b32_e64 v15, v6, v7, s[0:1]
	v_cmp_eq_u32_e64 s[0:1], 2, v14
	v_cndmask_b32_e32 v13, v16, v8, vcc
	s_addc_u32 s5, s5, -1
	v_fma_f32 v12, v2, v12, 0
	v_cndmask_b32_e64 v14, v15, v8, s[0:1]
	s_add_u32 s12, s12, 1
	v_fmac_f32_e32 v12, v3, v13
	s_addc_u32 s13, s13, 0
	v_fmac_f32_e32 v12, v4, v14
	s_add_u32 s14, s14, 1
	v_add_f32_e32 v12, v5, v12
	s_addc_u32 s15, s15, 0
	global_store_dword v[10:11], v12, off
	v_add_co_u32_e32 v10, vcc, s6, v10
	s_cmp_eq_u64 s[4:5], 0
	v_addc_co_u32_e32 v11, vcc, v11, v9, vcc
	s_cbranch_scc0 .LBB10_5
.LBB10_6:
	s_endpgm
	.section	.rodata,"a",@progbits
	.p2align	6, 0x0
	.amdhsa_kernel _ZL12ssm_conv_f32ILb0ELm128ELm3EEvPKfS1_S1_iiiiPfiiil
		.amdhsa_group_segment_fixed_size 0
		.amdhsa_private_segment_fixed_size 0
		.amdhsa_kernarg_size 72
		.amdhsa_user_sgpr_count 6
		.amdhsa_user_sgpr_private_segment_buffer 1
		.amdhsa_user_sgpr_dispatch_ptr 0
		.amdhsa_user_sgpr_queue_ptr 0
		.amdhsa_user_sgpr_kernarg_segment_ptr 1
		.amdhsa_user_sgpr_dispatch_id 0
		.amdhsa_user_sgpr_flat_scratch_init 0
		.amdhsa_user_sgpr_kernarg_preload_length 0
		.amdhsa_user_sgpr_kernarg_preload_offset 0
		.amdhsa_user_sgpr_private_segment_size 0
		.amdhsa_uses_dynamic_stack 0
		.amdhsa_system_sgpr_private_segment_wavefront_offset 0
		.amdhsa_system_sgpr_workgroup_id_x 1
		.amdhsa_system_sgpr_workgroup_id_y 1
		.amdhsa_system_sgpr_workgroup_id_z 0
		.amdhsa_system_sgpr_workgroup_info 0
		.amdhsa_system_vgpr_workitem_id 0
		.amdhsa_next_free_vgpr 21
		.amdhsa_next_free_sgpr 41
		.amdhsa_accum_offset 24
		.amdhsa_reserve_vcc 1
		.amdhsa_reserve_flat_scratch 0
		.amdhsa_float_round_mode_32 0
		.amdhsa_float_round_mode_16_64 0
		.amdhsa_float_denorm_mode_32 3
		.amdhsa_float_denorm_mode_16_64 3
		.amdhsa_dx10_clamp 1
		.amdhsa_ieee_mode 1
		.amdhsa_fp16_overflow 0
		.amdhsa_tg_split 0
		.amdhsa_exception_fp_ieee_invalid_op 0
		.amdhsa_exception_fp_denorm_src 0
		.amdhsa_exception_fp_ieee_div_zero 0
		.amdhsa_exception_fp_ieee_overflow 0
		.amdhsa_exception_fp_ieee_underflow 0
		.amdhsa_exception_fp_ieee_inexact 0
		.amdhsa_exception_int_div_zero 0
	.end_amdhsa_kernel
	.section	.text._ZL12ssm_conv_f32ILb0ELm128ELm3EEvPKfS1_S1_iiiiPfiiil,"axG",@progbits,_ZL12ssm_conv_f32ILb0ELm128ELm3EEvPKfS1_S1_iiiiPfiiil,comdat
.Lfunc_end10:
	.size	_ZL12ssm_conv_f32ILb0ELm128ELm3EEvPKfS1_S1_iiiiPfiiil, .Lfunc_end10-_ZL12ssm_conv_f32ILb0ELm128ELm3EEvPKfS1_S1_iiiiPfiiil
                                        ; -- End function
	.section	.AMDGPU.csdata,"",@progbits
; Kernel info:
; codeLenInByte = 1612
; NumSgprs: 45
; NumVgprs: 21
; NumAgprs: 0
; TotalNumVgprs: 21
; ScratchSize: 0
; MemoryBound: 0
; FloatMode: 240
; IeeeMode: 1
; LDSByteSize: 0 bytes/workgroup (compile time only)
; SGPRBlocks: 5
; VGPRBlocks: 2
; NumSGPRsForWavesPerEU: 45
; NumVGPRsForWavesPerEU: 21
; AccumOffset: 24
; Occupancy: 8
; WaveLimiterHint : 0
; COMPUTE_PGM_RSRC2:SCRATCH_EN: 0
; COMPUTE_PGM_RSRC2:USER_SGPR: 6
; COMPUTE_PGM_RSRC2:TRAP_HANDLER: 0
; COMPUTE_PGM_RSRC2:TGID_X_EN: 1
; COMPUTE_PGM_RSRC2:TGID_Y_EN: 1
; COMPUTE_PGM_RSRC2:TGID_Z_EN: 0
; COMPUTE_PGM_RSRC2:TIDIG_COMP_CNT: 0
; COMPUTE_PGM_RSRC3_GFX90A:ACCUM_OFFSET: 5
; COMPUTE_PGM_RSRC3_GFX90A:TG_SPLIT: 0
	.section	.text._ZL23ssm_conv_long_token_f32ILb0ELm128ELm3ELl32EEvPKfS1_S1_iiiiPfiiil,"axG",@progbits,_ZL23ssm_conv_long_token_f32ILb0ELm128ELm3ELl32EEvPKfS1_S1_iiiiPfiiil,comdat
	.globl	_ZL23ssm_conv_long_token_f32ILb0ELm128ELm3ELl32EEvPKfS1_S1_iiiiPfiiil ; -- Begin function _ZL23ssm_conv_long_token_f32ILb0ELm128ELm3ELl32EEvPKfS1_S1_iiiiPfiiil
	.p2align	8
	.type	_ZL23ssm_conv_long_token_f32ILb0ELm128ELm3ELl32EEvPKfS1_S1_iiiiPfiiil,@function
_ZL23ssm_conv_long_token_f32ILb0ELm128ELm3ELl32EEvPKfS1_S1_iiiiPfiiil: ; @_ZL23ssm_conv_long_token_f32ILb0ELm128ELm3ELl32EEvPKfS1_S1_iiiiPfiiil
; %bb.0:
	s_load_dwordx4 s[0:3], s[4:5], 0x18
	s_load_dwordx2 s[12:13], s[4:5], 0x0
	s_mov_b32 s10, s7
	v_mov_b32_e32 v1, s10
	s_waitcnt lgkmcnt(0)
	s_mul_i32 s2, s6, s2
	s_ashr_i32 s7, s2, 31
	s_add_u32 s2, s12, s2
	s_addc_u32 s7, s13, s7
	s_ashr_i32 s11, s10, 31
	s_lshl_b64 s[12:13], s[10:11], 7
	s_ashr_i32 s9, s1, 31
	s_mul_i32 s9, s12, s9
	s_mul_hi_u32 s10, s12, s1
	v_alignbit_b32 v1, s11, v1, 25
	s_add_i32 s10, s10, s9
	s_mul_i32 s9, s12, s1
	v_mul_lo_u32 v1, v1, s1
	v_mov_b32_e32 v2, s9
	v_add_u32_e32 v1, s10, v1
	v_mov_b32_e32 v3, s7
	v_add_co_u32_e32 v2, vcc, s2, v2
	s_ashr_i32 s9, s8, 31
	v_addc_co_u32_e32 v3, vcc, v3, v1, vcc
	s_lshl_b64 s[14:15], s[8:9], 5
	s_ashr_i32 s2, s0, 31
	v_mov_b32_e32 v1, s8
	v_alignbit_b32 v1, s9, v1, 27
	s_mul_i32 s2, s14, s2
	s_mul_hi_u32 s7, s14, s0
	v_mul_lo_u32 v1, v1, s0
	s_add_i32 s7, s7, s2
	s_mul_i32 s0, s14, s0
	v_add_u32_e32 v4, s7, v1
	v_add_co_u32_e32 v1, vcc, s0, v2
	v_mul_u32_u24_e32 v2, 0x788, v0
	v_lshrrev_b32_e32 v7, 16, v2
	v_mul_lo_u16_e32 v2, 34, v7
	v_sub_u16_e32 v2, v0, v2
	v_or_b32_e32 v6, 0x80, v2
	v_mul_lo_u16_e32 v8, 0xf1, v6
	v_lshrrev_b16_e32 v8, 13, v8
	v_addc_co_u32_e32 v3, vcc, v3, v4, vcc
	s_ashr_i32 s2, s1, 2
	v_add_u32_e32 v15, v7, v8
	v_mul_lo_u16_e32 v8, 34, v8
	v_mad_u64_u32 v[4:5], s[0:1], s2, v7, v[2:3]
	v_sub_u16_e32 v6, v6, v8
	v_ashrrev_i32_e32 v5, 31, v4
	v_and_b32_e32 v6, 0xff, v6
	v_lshlrev_b64 v[4:5], 2, v[4:5]
	v_mad_u64_u32 v[8:9], s[0:1], v15, s2, v[6:7]
	v_add_co_u32_e32 v4, vcc, v1, v4
	v_ashrrev_i32_e32 v9, 31, v8
	v_addc_co_u32_e32 v5, vcc, v3, v5, vcc
	v_lshlrev_b64 v[8:9], 2, v[8:9]
	v_add_co_u32_e32 v10, vcc, v1, v8
	v_or_b32_e32 v8, 0x80, v6
	v_addc_co_u32_e32 v11, vcc, v3, v9, vcc
	v_mul_lo_u16_e32 v9, 0xf1, v8
	v_lshrrev_b16_e32 v9, 13, v9
	v_add_u32_e32 v19, v15, v9
	v_mul_lo_u16_e32 v9, 34, v9
	v_sub_u16_e32 v8, v8, v9
	v_and_b32_e32 v8, 0xff, v8
	v_mad_u64_u32 v[12:13], s[0:1], v19, s2, v[8:9]
	v_or_b32_e32 v9, 0x80, v8
	v_mul_lo_u16_e32 v14, 0xf1, v9
	v_lshrrev_b16_e32 v14, 13, v14
	v_add_u32_e32 v22, v19, v14
	v_mul_lo_u16_e32 v14, 34, v14
	v_sub_u16_e32 v9, v9, v14
	v_and_b32_e32 v14, 0xff, v9
	v_or_b32_e32 v9, 0x80, v14
	v_mul_lo_u16_e32 v18, 0xf1, v9
	v_lshrrev_b16_e32 v18, 13, v18
	v_ashrrev_i32_e32 v13, 31, v12
	v_add_u32_e32 v23, v22, v18
	v_mul_lo_u16_e32 v18, 34, v18
	v_lshlrev_b64 v[12:13], 2, v[12:13]
	v_mad_u64_u32 v[16:17], s[0:1], v22, s2, v[14:15]
	v_sub_u16_e32 v9, v9, v18
	v_add_co_u32_e32 v12, vcc, v1, v12
	v_ashrrev_i32_e32 v17, 31, v16
	v_and_b32_e32 v18, 0xff, v9
	v_addc_co_u32_e32 v13, vcc, v3, v13, vcc
	v_lshlrev_b64 v[16:17], 2, v[16:17]
	v_mad_u64_u32 v[20:21], s[0:1], v23, s2, v[18:19]
	v_add_co_u32_e32 v16, vcc, v1, v16
	v_ashrrev_i32_e32 v21, 31, v20
	v_addc_co_u32_e32 v17, vcc, v3, v17, vcc
	v_lshlrev_b64 v[20:21], 2, v[20:21]
	v_add_co_u32_e32 v20, vcc, v1, v20
	v_addc_co_u32_e32 v21, vcc, v3, v21, vcc
	global_load_dword v24, v[4:5], off
	global_load_dword v25, v[10:11], off
	;; [unrolled: 1-line block ×5, first 2 shown]
	v_or_b32_e32 v4, 0x80, v18
	v_mul_lo_u16_e32 v5, 0xf1, v4
	v_lshrrev_b16_e32 v5, 13, v5
	v_add_u32_e32 v11, v23, v5
	v_mul_lo_u16_e32 v5, 34, v5
	v_sub_u16_e32 v4, v4, v5
	v_and_b32_e32 v10, 0xff, v4
	v_mad_u64_u32 v[4:5], s[0:1], v11, s2, v[10:11]
	v_ashrrev_i32_e32 v5, 31, v4
	v_lshlrev_b64 v[4:5], 2, v[4:5]
	v_add_co_u32_e32 v4, vcc, v1, v4
	v_addc_co_u32_e32 v5, vcc, v3, v5, vcc
	global_load_dword v29, v[4:5], off
	v_mad_u32_u24 v2, v7, 34, v2
	v_lshl_add_u32 v30, v2, 2, 0
	v_or_b32_e32 v2, 0x80, v10
	v_mul_lo_u16_e32 v4, 0xf1, v2
	v_lshrrev_b16_e32 v4, 13, v4
	v_add_u32_e32 v5, v11, v4
	v_mul_lo_u16_e32 v4, 34, v4
	v_sub_u16_e32 v2, v2, v4
	v_and_b32_e32 v2, 0xff, v2
	v_or_b32_e32 v4, 0x80, v2
	v_mul_lo_u16_e32 v7, 0xf1, v4
	v_mad_u64_u32 v[12:13], s[0:1], v5, s2, v[2:3]
	v_lshrrev_b16_e32 v9, 13, v7
	v_ashrrev_i32_e32 v13, 31, v12
	v_add_u32_e32 v7, v5, v9
	v_mul_lo_u16_e32 v9, 34, v9
	v_lshlrev_b64 v[12:13], 2, v[12:13]
	v_sub_u16_e32 v4, v4, v9
	v_add_co_u32_e32 v16, vcc, v1, v12
	v_and_b32_e32 v4, 0xff, v4
	v_addc_co_u32_e32 v17, vcc, v3, v13, vcc
	v_mad_u64_u32 v[12:13], s[0:1], v7, s2, v[4:5]
	v_ashrrev_i32_e32 v13, 31, v12
	v_lshlrev_b64 v[12:13], 2, v[12:13]
	v_add_co_u32_e32 v20, vcc, v1, v12
	v_addc_co_u32_e32 v21, vcc, v3, v13, vcc
	global_load_dword v9, v[16:17], off
	global_load_dword v13, v[20:21], off
	v_mad_u32_u24 v6, v15, 34, v6
	v_lshl_add_u32 v6, v6, 2, 0
	s_movk_i32 s7, 0x80
	s_waitcnt vmcnt(7)
	ds_write_b32 v30, v24
	s_waitcnt vmcnt(6)
	ds_write_b32 v6, v25
	v_mad_u32_u24 v6, v19, 34, v8
	v_lshl_add_u32 v6, v6, 2, 0
	s_waitcnt vmcnt(5)
	ds_write_b32 v6, v26
	v_mad_u32_u24 v6, v22, 34, v14
	v_lshl_add_u32 v6, v6, 2, 0
	;; [unrolled: 4-line block ×4, first 2 shown]
	s_waitcnt vmcnt(2)
	ds_write_b32 v6, v29
	v_or_b32_e32 v6, 0x80, v4
	v_mul_lo_u16_e32 v8, 0xf1, v6
	v_lshrrev_b16_e32 v8, 13, v8
	v_add_u32_e32 v17, v7, v8
	v_mul_lo_u16_e32 v8, 34, v8
	v_sub_u16_e32 v6, v6, v8
	v_and_b32_e32 v6, 0xff, v6
	v_or_b32_e32 v8, 0x80, v6
	v_mul_lo_u16_e32 v12, 0xf1, v8
	v_lshrrev_b16_e32 v12, 13, v12
	v_add_u32_e32 v19, v17, v12
	v_mul_lo_u16_e32 v12, 34, v12
	v_sub_u16_e32 v8, v8, v12
	v_and_b32_e32 v8, 0xff, v8
	;; [unrolled: 7-line block ×3, first 2 shown]
	v_mad_u64_u32 v[10:11], s[0:1], v17, s2, v[6:7]
	v_or_b32_e32 v16, 0x80, v12
	v_ashrrev_i32_e32 v11, 31, v10
	v_mul_lo_u16_e32 v18, 0xf1, v16
	v_lshlrev_b64 v[10:11], 2, v[10:11]
	v_lshrrev_b16_e32 v18, 13, v18
	v_add_co_u32_e32 v10, vcc, v1, v10
	v_add_u32_e32 v47, v43, v18
	s_waitcnt vmcnt(1)
	v_mad_u64_u32 v[14:15], s[0:1], v19, s2, v[8:9]
	v_ashrrev_i32_e32 v15, 31, v14
	v_mul_lo_u16_e32 v18, 34, v18
	v_addc_co_u32_e32 v11, vcc, v3, v11, vcc
	v_lshlrev_b64 v[14:15], 2, v[14:15]
	s_waitcnt vmcnt(0)
	v_mad_u64_u32 v[20:21], s[0:1], v43, s2, v[12:13]
	v_sub_u16_e32 v16, v16, v18
	v_add_co_u32_e32 v14, vcc, v1, v14
	v_ashrrev_i32_e32 v21, 31, v20
	v_and_b32_e32 v16, 0xff, v16
	v_addc_co_u32_e32 v15, vcc, v3, v15, vcc
	v_lshlrev_b64 v[20:21], 2, v[20:21]
	v_mad_u64_u32 v[22:23], s[0:1], v47, s2, v[16:17]
	v_add_co_u32_e32 v20, vcc, v1, v20
	v_ashrrev_i32_e32 v23, 31, v22
	v_addc_co_u32_e32 v21, vcc, v3, v21, vcc
	v_lshlrev_b64 v[22:23], 2, v[22:23]
	v_or_b32_e32 v18, 0x80, v16
	v_add_co_u32_e32 v24, vcc, v1, v22
	v_mul_lo_u16_e32 v22, 0xf1, v18
	v_lshrrev_b16_e32 v22, 13, v22
	v_add_u32_e32 v51, v47, v22
	v_mul_lo_u16_e32 v22, 34, v22
	v_sub_u16_e32 v18, v18, v22
	v_and_b32_e32 v18, 0xff, v18
	v_addc_co_u32_e32 v25, vcc, v3, v23, vcc
	v_mad_u64_u32 v[22:23], s[0:1], v51, s2, v[18:19]
	v_ashrrev_i32_e32 v23, 31, v22
	v_lshlrev_b64 v[22:23], 2, v[22:23]
	v_add_co_u32_e32 v28, vcc, v1, v22
	v_or_b32_e32 v22, 0x80, v18
	v_addc_co_u32_e32 v29, vcc, v3, v23, vcc
	v_mul_lo_u16_e32 v23, 0xf1, v22
	v_lshrrev_b16_e32 v23, 13, v23
	v_add_u32_e32 v54, v51, v23
	v_mul_lo_u16_e32 v23, 34, v23
	v_sub_u16_e32 v22, v22, v23
	v_and_b32_e32 v22, 0xff, v22
	v_mad_u64_u32 v[26:27], s[0:1], v54, s2, v[22:23]
	v_ashrrev_i32_e32 v27, 31, v26
	v_lshlrev_b64 v[26:27], 2, v[26:27]
	v_or_b32_e32 v23, 0x80, v22
	v_add_co_u32_e32 v32, vcc, v1, v26
	v_mul_lo_u16_e32 v26, 0xf1, v23
	v_lshrrev_b16_e32 v26, 13, v26
	v_addc_co_u32_e32 v33, vcc, v3, v27, vcc
	v_add_u32_e32 v27, v54, v26
	v_mul_lo_u16_e32 v26, 34, v26
	v_sub_u16_e32 v23, v23, v26
	v_and_b32_e32 v26, 0xff, v23
	v_mad_u64_u32 v[30:31], s[0:1], v27, s2, v[26:27]
	v_ashrrev_i32_e32 v31, 31, v30
	v_lshlrev_b64 v[30:31], 2, v[30:31]
	v_or_b32_e32 v23, 0x80, v26
	v_add_co_u32_e32 v36, vcc, v1, v30
	v_mul_lo_u16_e32 v30, 0xf1, v23
	v_lshrrev_b16_e32 v30, 13, v30
	v_addc_co_u32_e32 v37, vcc, v3, v31, vcc
	v_add_u32_e32 v31, v27, v30
	v_mul_lo_u16_e32 v30, 34, v30
	v_sub_u16_e32 v23, v23, v30
	v_and_b32_e32 v30, 0xff, v23
	v_mad_u64_u32 v[34:35], s[0:1], v31, s2, v[30:31]
	v_ashrrev_i32_e32 v35, 31, v34
	v_lshlrev_b64 v[34:35], 2, v[34:35]
	v_or_b32_e32 v23, 0x80, v30
	v_add_co_u32_e32 v38, vcc, v1, v34
	v_mul_lo_u16_e32 v34, 0xf1, v23
	v_lshrrev_b16_e32 v34, 13, v34
	v_addc_co_u32_e32 v39, vcc, v3, v35, vcc
	v_add_u32_e32 v35, v31, v34
	v_mul_lo_u16_e32 v34, 34, v34
	v_sub_u16_e32 v23, v23, v34
	v_and_b32_e32 v34, 0xff, v23
	v_or_b32_e32 v23, 0x80, v34
	v_mul_lo_u16_e32 v42, 0xf1, v23
	v_lshrrev_b16_e32 v42, 13, v42
	v_add_u32_e32 v55, v35, v42
	v_mul_lo_u16_e32 v42, 34, v42
	v_sub_u16_e32 v23, v23, v42
	v_and_b32_e32 v42, 0xff, v23
	v_or_b32_e32 v23, 0x80, v42
	v_mul_lo_u16_e32 v46, 0xf1, v23
	v_lshrrev_b16_e32 v46, 13, v46
	v_mul_lo_u16_e32 v48, 34, v46
	v_sub_u16_e32 v23, v23, v48
	v_add_u32_e32 v56, v55, v46
	v_and_b32_e32 v46, 0xff, v23
	v_mad_u64_u32 v[40:41], s[0:1], v35, s2, v[34:35]
	v_or_b32_e32 v23, 0x80, v46
	v_ashrrev_i32_e32 v41, 31, v40
	v_mul_lo_u16_e32 v50, 0xf1, v23
	v_lshlrev_b64 v[40:41], 2, v[40:41]
	v_mad_u64_u32 v[44:45], s[0:1], v55, s2, v[42:43]
	v_lshrrev_b16_e32 v50, 13, v50
	v_add_co_u32_e32 v40, vcc, v1, v40
	v_ashrrev_i32_e32 v45, 31, v44
	v_mul_lo_u16_e32 v52, 34, v50
	v_addc_co_u32_e32 v41, vcc, v3, v41, vcc
	v_lshlrev_b64 v[44:45], 2, v[44:45]
	v_mad_u64_u32 v[48:49], s[0:1], v56, s2, v[46:47]
	v_sub_u16_e32 v23, v23, v52
	v_add_co_u32_e32 v44, vcc, v1, v44
	v_ashrrev_i32_e32 v49, 31, v48
	v_add_u32_e32 v57, v56, v50
	v_and_b32_e32 v50, 0xff, v23
	v_addc_co_u32_e32 v45, vcc, v3, v45, vcc
	v_lshlrev_b64 v[48:49], 2, v[48:49]
	v_mad_u64_u32 v[52:53], s[0:1], v57, s2, v[50:51]
	v_add_co_u32_e32 v48, vcc, v1, v48
	v_ashrrev_i32_e32 v53, 31, v52
	v_addc_co_u32_e32 v49, vcc, v3, v49, vcc
	v_lshlrev_b64 v[52:53], 2, v[52:53]
	v_add_co_u32_e32 v52, vcc, v1, v52
	v_addc_co_u32_e32 v53, vcc, v3, v53, vcc
	global_load_dword v23, v[10:11], off
	global_load_dword v58, v[14:15], off
	global_load_dword v59, v[20:21], off
	global_load_dword v60, v[24:25], off
	global_load_dword v61, v[28:29], off
	global_load_dword v62, v[32:33], off
	global_load_dword v63, v[36:37], off
                                        ; kill: killed $vgpr14 killed $vgpr15
                                        ; kill: killed $vgpr36 killed $vgpr37
                                        ; kill: killed $vgpr20 killed $vgpr21
                                        ; kill: killed $vgpr24 killed $vgpr25
                                        ; kill: killed $vgpr28 killed $vgpr29
                                        ; kill: killed $vgpr10 killed $vgpr11
                                        ; kill: killed $vgpr32 killed $vgpr33
	global_load_dword v14, v[38:39], off
	global_load_dword v15, v[40:41], off
	;; [unrolled: 1-line block ×5, first 2 shown]
	v_mad_u64_u32 v[10:11], s[0:1], v5, 34, v[2:3]
	v_lshl_add_u32 v2, v10, 2, 0
	v_mad_u64_u32 v[4:5], s[0:1], v7, 34, v[4:5]
	ds_write_b32 v2, v9
	v_lshl_add_u32 v2, v4, 2, 0
	v_mad_u64_u32 v[4:5], s[0:1], v17, 34, v[6:7]
	ds_write_b32 v2, v13
	v_lshl_add_u32 v2, v4, 2, 0
	v_mad_u64_u32 v[4:5], s[0:1], v19, 34, v[8:9]
	s_waitcnt vmcnt(11)
	ds_write_b32 v2, v23
	v_lshl_add_u32 v2, v4, 2, 0
	v_mad_u64_u32 v[4:5], s[0:1], v43, 34, v[12:13]
	s_waitcnt vmcnt(10)
	;; [unrolled: 4-line block ×11, first 2 shown]
	ds_write_b32 v2, v21
	v_lshl_add_u32 v2, v4, 2, 0
	s_waitcnt vmcnt(0)
	ds_write_b32 v2, v24
	v_or_b32_e32 v2, 0x80, v50
	v_mul_lo_u16_e32 v4, 0xf1, v2
	v_lshrrev_b16_e32 v5, 13, v4
	v_add_u32_e32 v4, v57, v5
	v_mul_lo_u16_e32 v5, 34, v5
	v_sub_u16_e32 v2, v2, v5
	v_and_b32_e32 v2, 0xff, v2
	v_cmp_gt_u32_e32 vcc, s7, v4
	s_and_saveexec_b64 s[0:1], vcc
	s_cbranch_execz .LBB11_2
; %bb.1:
	v_mad_u64_u32 v[6:7], s[8:9], v4, s2, v[2:3]
	v_ashrrev_i32_e32 v7, 31, v6
	v_lshlrev_b64 v[6:7], 2, v[6:7]
	v_add_co_u32_e32 v6, vcc, v1, v6
	v_addc_co_u32_e32 v7, vcc, v3, v7, vcc
	global_load_dword v5, v[6:7], off
	v_mad_u64_u32 v[6:7], s[8:9], v4, 34, v[2:3]
	v_lshl_add_u32 v6, v6, 2, 0
	s_waitcnt vmcnt(0)
	ds_write_b32 v6, v5
.LBB11_2:
	s_or_b64 exec, exec, s[0:1]
	v_or_b32_e32 v2, 0x80, v2
	v_mul_lo_u16_e32 v5, 0xf1, v2
	v_lshrrev_b16_e32 v5, 13, v5
	v_add_u32_e32 v4, v4, v5
	v_mul_lo_u16_e32 v5, 34, v5
	v_sub_u16_e32 v2, v2, v5
	v_and_b32_e32 v2, 0xff, v2
	v_cmp_gt_u32_e32 vcc, s7, v4
	s_and_saveexec_b64 s[0:1], vcc
	s_cbranch_execz .LBB11_4
; %bb.3:
	v_mad_u64_u32 v[6:7], s[8:9], v4, s2, v[2:3]
	v_ashrrev_i32_e32 v7, 31, v6
	v_lshlrev_b64 v[6:7], 2, v[6:7]
	v_add_co_u32_e32 v6, vcc, v1, v6
	v_addc_co_u32_e32 v7, vcc, v3, v7, vcc
	global_load_dword v5, v[6:7], off
	v_mad_u64_u32 v[6:7], s[8:9], v4, 34, v[2:3]
	v_lshl_add_u32 v6, v6, 2, 0
	s_waitcnt vmcnt(0)
	ds_write_b32 v6, v5
.LBB11_4:
	s_or_b64 exec, exec, s[0:1]
	;; [unrolled: 23-line block ×6, first 2 shown]
	v_or_b32_e32 v2, 0x80, v2
	v_mul_lo_u16_e32 v5, 0xf1, v2
	v_lshrrev_b16_e32 v5, 13, v5
	v_add_u32_e32 v4, v4, v5
	v_mul_lo_u16_e32 v5, 34, v5
	s_movk_i32 s0, 0x80
	v_sub_u16_e32 v2, v2, v5
	v_and_b32_e32 v2, 0xff, v2
	v_cmp_gt_u32_e32 vcc, s0, v4
	s_and_saveexec_b64 s[0:1], vcc
	s_cbranch_execz .LBB11_14
; %bb.13:
	v_mad_u64_u32 v[6:7], s[8:9], v4, s2, v[2:3]
	v_ashrrev_i32_e32 v7, 31, v6
	v_lshlrev_b64 v[6:7], 2, v[6:7]
	v_add_co_u32_e32 v6, vcc, v1, v6
	v_addc_co_u32_e32 v7, vcc, v3, v7, vcc
	global_load_dword v5, v[6:7], off
	v_mad_u64_u32 v[6:7], s[8:9], v4, 34, v[2:3]
	v_lshl_add_u32 v6, v6, 2, 0
	s_waitcnt vmcnt(0)
	ds_write_b32 v6, v5
.LBB11_14:
	s_or_b64 exec, exec, s[0:1]
	s_load_dwordx4 s[8:11], s[4:5], 0x8
	s_load_dwordx2 s[0:1], s[4:5], 0x28
	s_movk_i32 s7, 0x380
	v_cmp_gt_u32_e32 vcc, s7, v0
	s_and_saveexec_b64 s[16:17], vcc
	s_cbranch_execz .LBB11_35
; %bb.15:
	v_or_b32_e32 v2, 0x80, v2
	v_mul_lo_u16_e32 v5, 0xf1, v2
	v_lshrrev_b16_e32 v5, 13, v5
	v_add_u32_e32 v4, v4, v5
	v_mul_lo_u16_e32 v5, 34, v5
	s_movk_i32 s7, 0x80
	v_sub_u16_e32 v2, v2, v5
	v_and_b32_e32 v2, 0xff, v2
	v_cmp_gt_u32_e32 vcc, s7, v4
	s_and_saveexec_b64 s[18:19], vcc
	s_cbranch_execz .LBB11_17
; %bb.16:
	v_mad_u64_u32 v[6:7], s[20:21], v4, s2, v[2:3]
	v_ashrrev_i32_e32 v7, 31, v6
	v_lshlrev_b64 v[6:7], 2, v[6:7]
	v_add_co_u32_e32 v6, vcc, v1, v6
	v_addc_co_u32_e32 v7, vcc, v3, v7, vcc
	global_load_dword v5, v[6:7], off
	v_mad_u64_u32 v[6:7], s[20:21], v4, 34, v[2:3]
	v_lshl_add_u32 v6, v6, 2, 0
	s_waitcnt vmcnt(0)
	ds_write_b32 v6, v5
.LBB11_17:
	s_or_b64 exec, exec, s[18:19]
	s_movk_i32 s7, 0x300
	v_cmp_gt_u32_e32 vcc, s7, v0
	s_and_b64 exec, exec, vcc
	s_cbranch_execz .LBB11_35
; %bb.18:
	v_or_b32_e32 v2, 0x80, v2
	v_mul_lo_u16_e32 v5, 0xf1, v2
	v_lshrrev_b16_e32 v5, 13, v5
	v_add_u32_e32 v4, v4, v5
	v_mul_lo_u16_e32 v5, 34, v5
	s_movk_i32 s7, 0x80
	v_sub_u16_e32 v2, v2, v5
	v_and_b32_e32 v2, 0xff, v2
	v_cmp_gt_u32_e32 vcc, s7, v4
	s_and_saveexec_b64 s[18:19], vcc
	s_cbranch_execz .LBB11_20
; %bb.19:
	v_mad_u64_u32 v[6:7], s[20:21], v4, s2, v[2:3]
	v_ashrrev_i32_e32 v7, 31, v6
	v_lshlrev_b64 v[6:7], 2, v[6:7]
	v_add_co_u32_e32 v6, vcc, v1, v6
	v_addc_co_u32_e32 v7, vcc, v3, v7, vcc
	global_load_dword v5, v[6:7], off
	v_mad_u64_u32 v[6:7], s[20:21], v4, 34, v[2:3]
	v_lshl_add_u32 v6, v6, 2, 0
	s_waitcnt vmcnt(0)
	ds_write_b32 v6, v5
.LBB11_20:
	s_or_b64 exec, exec, s[18:19]
	s_movk_i32 s7, 0x280
	v_cmp_gt_u32_e32 vcc, s7, v0
	s_and_b64 exec, exec, vcc
	;; [unrolled: 29-line block ×5, first 2 shown]
	s_cbranch_execz .LBB11_35
; %bb.30:
	v_or_b32_e32 v2, 0x80, v2
	v_mul_lo_u16_e32 v5, 0xf1, v2
	v_lshrrev_b16_e32 v5, 13, v5
	v_add_u32_e32 v4, v4, v5
	v_mul_lo_u16_e32 v5, 34, v5
	s_movk_i32 s7, 0x80
	v_sub_u16_e32 v2, v2, v5
	v_and_b32_e32 v2, 0xff, v2
	v_cmp_gt_u32_e32 vcc, s7, v4
	s_and_saveexec_b64 s[18:19], vcc
	s_cbranch_execz .LBB11_32
; %bb.31:
	v_mad_u64_u32 v[6:7], s[20:21], v4, s2, v[2:3]
	v_ashrrev_i32_e32 v7, 31, v6
	v_lshlrev_b64 v[6:7], 2, v[6:7]
	v_add_co_u32_e32 v6, vcc, v1, v6
	v_addc_co_u32_e32 v7, vcc, v3, v7, vcc
	global_load_dword v5, v[6:7], off
	v_mad_u64_u32 v[6:7], s[20:21], v4, 34, v[2:3]
	v_lshl_add_u32 v6, v6, 2, 0
	s_waitcnt vmcnt(0)
	ds_write_b32 v6, v5
.LBB11_32:
	s_or_b64 exec, exec, s[18:19]
	v_cmp_gt_u32_e32 vcc, s7, v0
	s_and_b64 exec, exec, vcc
	s_cbranch_execz .LBB11_35
; %bb.33:
	v_or_b32_e32 v5, 0x80, v2
	v_mul_lo_u16_e32 v2, 0xf1, v5
	v_lshrrev_b16_e32 v6, 13, v2
	v_add_u32_e32 v2, v4, v6
	v_cmp_gt_u32_e32 vcc, s7, v2
	s_and_b64 exec, exec, vcc
	s_cbranch_execz .LBB11_35
; %bb.34:
	v_mul_lo_u16_e32 v4, 34, v6
	v_sub_u16_e32 v4, v5, v4
	v_and_b32_e32 v4, 0xff, v4
	v_mad_u64_u32 v[6:7], s[18:19], v2, s2, v[4:5]
	v_ashrrev_i32_e32 v7, 31, v6
	v_lshlrev_b64 v[6:7], 2, v[6:7]
	v_add_co_u32_e32 v6, vcc, v1, v6
	v_addc_co_u32_e32 v7, vcc, v3, v7, vcc
	global_load_dword v1, v[6:7], off
	v_mad_u64_u32 v[2:3], s[18:19], v2, 34, v[4:5]
	v_lshl_add_u32 v2, v2, 2, 0
	s_waitcnt vmcnt(0)
	ds_write_b32 v2, v1
.LBB11_35:
	s_or_b64 exec, exec, s[16:17]
	s_ashr_i32 s2, s3, 31
	s_mul_hi_u32 s7, s12, s3
	s_mul_i32 s2, s12, s2
	s_add_i32 s2, s7, s2
	s_mul_i32 s7, s13, s3
	s_add_i32 s2, s2, s7
	s_mul_i32 s7, s12, s3
	s_waitcnt lgkmcnt(0)
	s_add_u32 s7, s8, s7
	s_addc_u32 s2, s9, s2
	s_ashr_i32 s3, s3, 2
	v_mul_lo_u32 v2, s3, v0
	v_ashrrev_i32_e32 v3, 31, v2
	v_lshlrev_b64 v[2:3], 2, v[2:3]
	v_mov_b32_e32 v1, s2
	v_add_co_u32_e32 v2, vcc, s7, v2
	v_addc_co_u32_e32 v3, vcc, v1, v3, vcc
	s_barrier
	global_load_dwordx3 v[2:4], v[2:3], off
	s_cmp_eq_u64 s[10:11], 0
	v_lshlrev_b32_e32 v14, 2, v0
	s_cbranch_scc1 .LBB11_37
; %bb.36:
	s_lshl_b64 s[2:3], s[12:13], 2
	s_add_u32 s2, s10, s2
	s_addc_u32 s3, s11, s3
	global_load_dword v6, v14, s[2:3]
	s_branch .LBB11_38
.LBB11_37:
	v_mov_b32_e32 v6, 0
.LBB11_38:
	s_load_dwordx2 s[2:3], s[4:5], 0x40
	s_waitcnt lgkmcnt(0)
	s_sub_u32 s8, s2, s14
	s_subb_u32 s9, s3, s15
	v_cmp_lt_i64_e64 s[2:3], s[8:9], 1
	s_and_b64 vcc, exec, s[2:3]
	s_cbranch_vccnz .LBB11_46
; %bb.39:
	s_load_dwordx4 s[16:19], s[4:5], 0x30
	s_waitcnt vmcnt(0)
	v_mov_b32_e32 v8, v3
	v_mov_b32_e32 v9, v4
	s_mov_b32 s5, 0
	v_mul_u32_u24_e32 v15, 34, v0
	s_waitcnt lgkmcnt(0)
	s_ashr_i32 s2, s17, 31
	s_mul_hi_u32 s3, s14, s17
	s_mul_i32 s2, s14, s2
	s_add_i32 s2, s3, s2
	s_mul_i32 s3, s15, s17
	s_add_i32 s15, s2, s3
	s_ashr_i32 s2, s16, 31
	s_mul_hi_u32 s3, s12, s16
	s_mul_i32 s2, s12, s2
	s_mul_i32 s10, s6, s18
	s_add_i32 s2, s3, s2
	s_mul_i32 s3, s13, s16
	s_ashr_i32 s11, s10, 31
	s_add_i32 s13, s2, s3
	s_ashr_i32 s2, s17, 2
	v_cmp_lt_i64_e64 s[6:7], s[8:9], 32
	s_and_b64 s[6:7], s[6:7], exec
	s_cselect_b32 s7, s9, 0
	s_cselect_b32 s6, s8, 32
	s_mul_i32 s14, s14, s17
	s_mul_i32 s12, s12, s16
	v_cmp_gt_i64_e64 s[16:17], s[6:7], 1
	s_and_b64 s[16:17], s[16:17], exec
	s_cselect_b32 s7, s7, 0
	s_cselect_b32 s6, s6, 1
	s_cmp_eq_u64 s[8:9], 1
	s_cselect_b64 s[8:9], -1, 0
	s_cmp_lg_u32 s2, 1
	s_cselect_b64 s[16:17], -1, 0
	s_or_b64 s[8:9], s[8:9], s[16:17]
	s_and_b64 vcc, exec, s[8:9]
	s_cbranch_vccnz .LBB11_43
; %bb.40:
	s_add_u32 s3, s0, s10
	s_addc_u32 s4, s1, s11
	s_add_u32 s3, s3, s14
	v_lshl_add_u32 v16, v15, 2, 0
	s_addc_u32 s4, s4, s15
	ds_read2_b32 v[12:13], v16 offset1:1
	s_add_u32 s3, s3, s12
	s_addc_u32 s4, s4, s13
	v_mov_b32_e32 v1, s4
	v_add_co_u32_e32 v0, vcc, s3, v14
	s_and_b32 s4, s6, 62
	v_addc_co_u32_e32 v1, vcc, 0, v1, vcc
	v_mov_b32_e32 v3, v2
	v_mov_b32_e32 v4, v8
	;; [unrolled: 1-line block ×6, first 2 shown]
	s_mov_b64 s[8:9], s[4:5]
.LBB11_41:                              ; =>This Inner Loop Header: Depth=1
	s_waitcnt lgkmcnt(0)
	v_pk_fma_f32 v[18:19], v[2:3], v[12:13], 0 op_sel_hi:[1,1,0]
	ds_read2_b32 v[20:21], v16 offset0:1 offset1:2
	ds_read2_b32 v[12:13], v16 offset0:2 offset1:3
	s_add_u32 s8, s8, -2
	v_add_u32_e32 v17, 8, v16
	s_addc_u32 s9, s9, -1
	s_waitcnt lgkmcnt(1)
	v_pk_fma_f32 v[18:19], v[4:5], v[20:21], v[18:19]
	s_waitcnt lgkmcnt(0)
	v_pk_fma_f32 v[18:19], v[10:11], v[12:13], v[18:19]
	v_pk_add_f32 v[18:19], v[6:7], v[18:19]
	global_store_dwordx2 v[0:1], v[18:19], off
	v_add_co_u32_e32 v0, vcc, 8, v0
	v_mov_b32_e32 v16, v17
	s_cmp_lg_u64 s[8:9], 0
	v_addc_co_u32_e32 v1, vcc, 0, v1, vcc
	s_cbranch_scc1 .LBB11_41
; %bb.42:
	s_cmp_lg_u64 s[6:7], s[4:5]
	s_cselect_b64 s[8:9], -1, 0
	s_and_b64 vcc, exec, s[8:9]
	s_cbranch_vccnz .LBB11_44
	s_branch .LBB11_46
.LBB11_43:
	s_mov_b64 s[4:5], 0
	s_cbranch_execz .LBB11_46
.LBB11_44:
	s_ashr_i32 s3, s2, 31
	s_sub_u32 s6, s4, s6
	s_subb_u32 s7, s5, s7
	s_add_u32 s5, s12, s14
	s_mul_hi_i32 s9, s4, s2
	s_mul_i32 s8, s4, s2
	s_addc_u32 s12, s13, s15
	s_lshl_b64 s[8:9], s[8:9], 2
	s_add_u32 s5, s5, s8
	s_addc_u32 s8, s12, s9
	v_add_u32_e32 v0, s4, v15
	s_add_u32 s0, s0, s10
	v_lshl_add_u32 v7, v0, 2, 0
	s_addc_u32 s1, s1, s11
	ds_read_b32 v4, v7
	s_add_u32 s0, s0, s5
	s_addc_u32 s1, s1, s8
	v_mov_b32_e32 v1, s1
	v_add_co_u32_e32 v0, vcc, s0, v14
	s_lshl_b64 s[2:3], s[2:3], 2
	v_addc_co_u32_e32 v1, vcc, 0, v1, vcc
	v_mov_b32_e32 v3, s3
.LBB11_45:                              ; =>This Inner Loop Header: Depth=1
	s_waitcnt lgkmcnt(0)
	v_fma_f32 v12, v2, v4, 0
	ds_read2_b32 v[4:5], v7 offset0:1 offset1:2
	v_add_u32_e32 v10, 4, v7
	s_add_u32 s6, s6, 1
	v_mov_b32_e32 v7, v10
	s_addc_u32 s7, s7, 0
	s_waitcnt lgkmcnt(0)
	v_pk_mul_f32 v[10:11], v[8:9], v[4:5]
	v_add_f32_e32 v5, v12, v10
	s_cmp_eq_u64 s[6:7], 0
	v_add_f32_e32 v5, v5, v11
	s_cselect_b64 s[0:1], -1, 0
	v_add_f32_e32 v5, v6, v5
	s_andn2_b64 vcc, exec, s[0:1]
	global_store_dword v[0:1], v5, off
	v_add_co_u32_e64 v0, s[0:1], s2, v0
	v_addc_co_u32_e64 v1, s[0:1], v1, v3, s[0:1]
	s_cbranch_vccnz .LBB11_45
.LBB11_46:
	s_endpgm
	.section	.rodata,"a",@progbits
	.p2align	6, 0x0
	.amdhsa_kernel _ZL23ssm_conv_long_token_f32ILb0ELm128ELm3ELl32EEvPKfS1_S1_iiiiPfiiil
		.amdhsa_group_segment_fixed_size 0
		.amdhsa_private_segment_fixed_size 0
		.amdhsa_kernarg_size 72
		.amdhsa_user_sgpr_count 6
		.amdhsa_user_sgpr_private_segment_buffer 1
		.amdhsa_user_sgpr_dispatch_ptr 0
		.amdhsa_user_sgpr_queue_ptr 0
		.amdhsa_user_sgpr_kernarg_segment_ptr 1
		.amdhsa_user_sgpr_dispatch_id 0
		.amdhsa_user_sgpr_flat_scratch_init 0
		.amdhsa_user_sgpr_kernarg_preload_length 0
		.amdhsa_user_sgpr_kernarg_preload_offset 0
		.amdhsa_user_sgpr_private_segment_size 0
		.amdhsa_uses_dynamic_stack 0
		.amdhsa_system_sgpr_private_segment_wavefront_offset 0
		.amdhsa_system_sgpr_workgroup_id_x 1
		.amdhsa_system_sgpr_workgroup_id_y 1
		.amdhsa_system_sgpr_workgroup_id_z 1
		.amdhsa_system_sgpr_workgroup_info 0
		.amdhsa_system_vgpr_workitem_id 0
		.amdhsa_next_free_vgpr 64
		.amdhsa_next_free_sgpr 22
		.amdhsa_accum_offset 64
		.amdhsa_reserve_vcc 1
		.amdhsa_reserve_flat_scratch 0
		.amdhsa_float_round_mode_32 0
		.amdhsa_float_round_mode_16_64 0
		.amdhsa_float_denorm_mode_32 3
		.amdhsa_float_denorm_mode_16_64 3
		.amdhsa_dx10_clamp 1
		.amdhsa_ieee_mode 1
		.amdhsa_fp16_overflow 0
		.amdhsa_tg_split 0
		.amdhsa_exception_fp_ieee_invalid_op 0
		.amdhsa_exception_fp_denorm_src 0
		.amdhsa_exception_fp_ieee_div_zero 0
		.amdhsa_exception_fp_ieee_overflow 0
		.amdhsa_exception_fp_ieee_underflow 0
		.amdhsa_exception_fp_ieee_inexact 0
		.amdhsa_exception_int_div_zero 0
	.end_amdhsa_kernel
	.section	.text._ZL23ssm_conv_long_token_f32ILb0ELm128ELm3ELl32EEvPKfS1_S1_iiiiPfiiil,"axG",@progbits,_ZL23ssm_conv_long_token_f32ILb0ELm128ELm3ELl32EEvPKfS1_S1_iiiiPfiiil,comdat
.Lfunc_end11:
	.size	_ZL23ssm_conv_long_token_f32ILb0ELm128ELm3ELl32EEvPKfS1_S1_iiiiPfiiil, .Lfunc_end11-_ZL23ssm_conv_long_token_f32ILb0ELm128ELm3ELl32EEvPKfS1_S1_iiiiPfiiil
                                        ; -- End function
	.section	.AMDGPU.csdata,"",@progbits
; Kernel info:
; codeLenInByte = 4812
; NumSgprs: 26
; NumVgprs: 64
; NumAgprs: 0
; TotalNumVgprs: 64
; ScratchSize: 0
; MemoryBound: 0
; FloatMode: 240
; IeeeMode: 1
; LDSByteSize: 0 bytes/workgroup (compile time only)
; SGPRBlocks: 3
; VGPRBlocks: 7
; NumSGPRsForWavesPerEU: 26
; NumVGPRsForWavesPerEU: 64
; AccumOffset: 64
; Occupancy: 8
; WaveLimiterHint : 0
; COMPUTE_PGM_RSRC2:SCRATCH_EN: 0
; COMPUTE_PGM_RSRC2:USER_SGPR: 6
; COMPUTE_PGM_RSRC2:TRAP_HANDLER: 0
; COMPUTE_PGM_RSRC2:TGID_X_EN: 1
; COMPUTE_PGM_RSRC2:TGID_Y_EN: 1
; COMPUTE_PGM_RSRC2:TGID_Z_EN: 1
; COMPUTE_PGM_RSRC2:TIDIG_COMP_CNT: 0
; COMPUTE_PGM_RSRC3_GFX90A:ACCUM_OFFSET: 15
; COMPUTE_PGM_RSRC3_GFX90A:TG_SPLIT: 0
	.section	.text._ZL12ssm_conv_f32ILb0ELm128ELm4EEvPKfS1_S1_iiiiPfiiil,"axG",@progbits,_ZL12ssm_conv_f32ILb0ELm128ELm4EEvPKfS1_S1_iiiiPfiiil,comdat
	.globl	_ZL12ssm_conv_f32ILb0ELm128ELm4EEvPKfS1_S1_iiiiPfiiil ; -- Begin function _ZL12ssm_conv_f32ILb0ELm128ELm4EEvPKfS1_S1_iiiiPfiiil
	.p2align	8
	.type	_ZL12ssm_conv_f32ILb0ELm128ELm4EEvPKfS1_S1_iiiiPfiiil,@function
_ZL12ssm_conv_f32ILb0ELm128ELm4EEvPKfS1_S1_iiiiPfiiil: ; @_ZL12ssm_conv_f32ILb0ELm128ELm4EEvPKfS1_S1_iiiiPfiiil
; %bb.0:
	s_load_dwordx2 s[0:1], s[4:5], 0x10
	s_mov_b32 s12, s7
	s_ashr_i32 s13, s7, 31
	s_lshl_b64 s[18:19], s[12:13], 7
	v_lshlrev_b32_e32 v10, 2, v0
	s_waitcnt lgkmcnt(0)
	s_cmp_eq_u64 s[0:1], 0
	s_cbranch_scc1 .LBB12_2
; %bb.1:
	s_lshl_b64 s[2:3], s[18:19], 2
	s_add_u32 s0, s0, s2
	s_addc_u32 s1, s1, s3
	global_load_dword v12, v10, s[0:1]
	s_load_dwordx2 s[16:17], s[4:5], 0x40
	s_waitcnt lgkmcnt(0)
	v_cmp_lt_i64_e64 s[0:1], s[16:17], 1
	s_and_b64 vcc, exec, s[0:1]
	s_cbranch_vccz .LBB12_3
	s_branch .LBB12_6
.LBB12_2:
	v_mov_b32_e32 v12, 0
	s_load_dwordx2 s[16:17], s[4:5], 0x40
	s_waitcnt lgkmcnt(0)
	v_cmp_lt_i64_e64 s[0:1], s[16:17], 1
	s_and_b64 vcc, exec, s[0:1]
	s_cbranch_vccnz .LBB12_6
.LBB12_3:
	s_load_dwordx4 s[8:11], s[4:5], 0x1c
	s_load_dwordx4 s[0:3], s[4:5], 0x0
	v_mov_b32_e32 v1, s12
	v_alignbit_b32 v1, s13, v1, 25
	s_waitcnt lgkmcnt(0)
	s_ashr_i32 s7, s10, 31
	s_mul_hi_u32 s11, s18, s10
	s_mul_i32 s7, s18, s7
	v_mul_lo_u32 v1, v1, s10
	s_add_i32 s11, s11, s7
	s_mul_i32 s7, s18, s10
	s_ashr_i32 s10, s10, 2
	v_mul_lo_u32 v2, s10, v0
	v_mov_b32_e32 v4, s7
	v_add_u32_e32 v1, s11, v1
	v_mov_b32_e32 v5, s3
	v_ashrrev_i32_e32 v3, 31, v2
	v_add_co_u32_e32 v4, vcc, s2, v4
	v_addc_co_u32_e32 v1, vcc, v5, v1, vcc
	v_lshlrev_b64 v[2:3], 2, v[2:3]
	v_add_co_u32_e32 v2, vcc, v4, v2
	v_addc_co_u32_e32 v3, vcc, v1, v3, vcc
	global_load_dwordx4 v[2:5], v[2:3], off
	s_load_dwordx2 s[2:3], s[4:5], 0x28
	s_load_dwordx4 s[12:15], s[4:5], 0x30
	s_ashr_i32 s4, s8, 31
	s_mul_hi_u32 s5, s18, s8
	s_mul_i32 s4, s18, s4
	s_add_i32 s4, s5, s4
	s_mul_i32 s5, s19, s8
	s_mul_i32 s7, s6, s9
	s_add_i32 s10, s4, s5
	s_waitcnt lgkmcnt(0)
	s_mul_i32 s4, s6, s14
	s_ashr_i32 s9, s7, 31
	s_ashr_i32 s5, s4, 31
	s_add_u32 s6, s2, s4
	s_addc_u32 s14, s3, s5
	s_ashr_i32 s11, s12, 31
	s_mul_hi_u32 s20, s18, s12
	s_mul_i32 s11, s18, s11
	s_add_i32 s11, s20, s11
	s_mul_i32 s19, s19, s12
	s_add_i32 s11, s11, s19
	s_mul_i32 s12, s18, s12
	s_mul_i32 s15, s18, s8
	s_add_u32 s18, s6, s12
	s_addc_u32 s19, s14, s11
	s_add_u32 s6, s0, s7
	s_addc_u32 s14, s1, s9
	;; [unrolled: 2-line block ×3, first 2 shown]
	s_ashr_i32 s8, s8, 2
	v_mul_lo_u32 v0, s8, v0
	v_ashrrev_i32_e32 v1, 31, v0
	v_lshlrev_b64 v[0:1], 2, v[0:1]
	v_mov_b32_e32 v7, s14
	v_add_co_u32_e32 v6, vcc, s6, v0
	v_addc_co_u32_e32 v7, vcc, v7, v1, vcc
	global_load_dwordx4 v[6:9], v[6:7], off
	s_cmp_eq_u64 s[16:17], 1
	s_waitcnt vmcnt(0)
	v_fma_f32 v11, v2, v6, 0
	v_fmac_f32_e32 v11, v3, v7
	v_fmac_f32_e32 v11, v4, v8
	;; [unrolled: 1-line block ×3, first 2 shown]
	v_add_f32_e32 v11, v12, v11
	global_store_dword v10, v11, s[18:19]
	s_cbranch_scc1 .LBB12_6
; %bb.4:
	s_ashr_i32 s18, s13, 2
	s_ashr_i32 s19, s18, 31
	s_add_u32 s0, s0, s7
	s_addc_u32 s1, s1, s9
	s_add_u32 s0, s0, s15
	s_addc_u32 s1, s1, s10
	s_add_u32 s6, s16, -1
	s_addc_u32 s7, s17, -1
	s_lshl_b64 s[8:9], s[18:19], 2
	v_add_co_u32_e32 v0, vcc, s0, v0
	s_add_u32 s0, s12, s8
	v_mov_b32_e32 v11, s1
	s_addc_u32 s1, s11, s9
	s_add_u32 s2, s2, s4
	v_addc_co_u32_e32 v1, vcc, v11, v1, vcc
	s_addc_u32 s3, s3, s5
	v_add_co_u32_e32 v0, vcc, 16, v0
	s_add_u32 s0, s2, s0
	v_addc_co_u32_e32 v1, vcc, 0, v1, vcc
	s_addc_u32 s1, s3, s1
	v_mov_b32_e32 v11, s1
	v_add_co_u32_e32 v10, vcc, s0, v10
	v_addc_co_u32_e32 v11, vcc, 0, v11, vcc
	s_mov_b64 s[10:11], 0
	v_mov_b32_e32 v13, s9
.LBB12_5:                               ; =>This Inner Loop Header: Depth=1
	global_load_dword v14, v[0:1], off
	s_add_u32 s12, s10, 1
	s_addc_u32 s13, s11, 0
	s_add_i32 s0, s10, 4
	v_add_co_u32_e32 v0, vcc, 4, v0
	s_and_b32 s4, s0, 3
	v_addc_co_u32_e32 v1, vcc, 0, v1, vcc
	s_cmp_eq_u32 s4, 3
	s_cselect_b64 vcc, -1, 0
	s_cmp_eq_u32 s4, 2
	s_cselect_b64 s[0:1], -1, 0
	s_cmp_eq_u32 s4, 1
	s_cselect_b64 s[2:3], -1, 0
	;; [unrolled: 2-line block ×3, first 2 shown]
	s_and_b32 s9, s12, 3
	s_cmp_eq_u32 s9, 1
	s_waitcnt vmcnt(0)
	v_cndmask_b32_e32 v9, v9, v14, vcc
	v_cndmask_b32_e64 v7, v7, v14, s[2:3]
	v_cndmask_b32_e64 v6, v6, v14, s[4:5]
	s_cselect_b64 vcc, -1, 0
	s_cmp_eq_u32 s9, 2
	v_cndmask_b32_e64 v8, v8, v14, s[0:1]
	v_cndmask_b32_e32 v15, v6, v7, vcc
	s_cselect_b64 vcc, -1, 0
	s_cmp_eq_u32 s9, 3
	v_cndmask_b32_e32 v15, v15, v8, vcc
	s_cselect_b64 vcc, -1, 0
	s_add_i32 s0, s10, 2
	s_and_b32 s0, s0, 3
	s_cmp_eq_u32 s0, 1
	v_cndmask_b32_e32 v15, v15, v9, vcc
	s_cselect_b64 vcc, -1, 0
	s_cmp_eq_u32 s0, 2
	v_cndmask_b32_e32 v16, v6, v7, vcc
	s_cselect_b64 vcc, -1, 0
	;; [unrolled: 3-line block ×3, first 2 shown]
	s_xor_b32 s0, s9, 2
	s_cmp_eq_u32 s0, 1
	v_fma_f32 v15, v2, v15, 0
	v_cndmask_b32_e32 v16, v16, v9, vcc
	s_cselect_b64 vcc, -1, 0
	s_cmp_eq_u32 s0, 2
	v_fmac_f32_e32 v15, v3, v16
	v_cndmask_b32_e32 v16, v6, v7, vcc
	s_cselect_b64 vcc, -1, 0
	s_cmp_eq_u32 s0, 3
	v_cndmask_b32_e32 v16, v16, v8, vcc
	s_cselect_b64 vcc, -1, 0
	v_cndmask_b32_e32 v16, v16, v9, vcc
	v_fmac_f32_e32 v15, v4, v16
	v_fmac_f32_e32 v15, v5, v14
	v_add_f32_e32 v14, v12, v15
	global_store_dword v[10:11], v14, off
	v_add_co_u32_e32 v10, vcc, s8, v10
	s_mov_b64 s[10:11], s[12:13]
	s_cmp_eq_u64 s[6:7], s[12:13]
	v_addc_co_u32_e32 v11, vcc, v11, v13, vcc
	s_cbranch_scc0 .LBB12_5
.LBB12_6:
	s_endpgm
	.section	.rodata,"a",@progbits
	.p2align	6, 0x0
	.amdhsa_kernel _ZL12ssm_conv_f32ILb0ELm128ELm4EEvPKfS1_S1_iiiiPfiiil
		.amdhsa_group_segment_fixed_size 0
		.amdhsa_private_segment_fixed_size 0
		.amdhsa_kernarg_size 72
		.amdhsa_user_sgpr_count 6
		.amdhsa_user_sgpr_private_segment_buffer 1
		.amdhsa_user_sgpr_dispatch_ptr 0
		.amdhsa_user_sgpr_queue_ptr 0
		.amdhsa_user_sgpr_kernarg_segment_ptr 1
		.amdhsa_user_sgpr_dispatch_id 0
		.amdhsa_user_sgpr_flat_scratch_init 0
		.amdhsa_user_sgpr_kernarg_preload_length 0
		.amdhsa_user_sgpr_kernarg_preload_offset 0
		.amdhsa_user_sgpr_private_segment_size 0
		.amdhsa_uses_dynamic_stack 0
		.amdhsa_system_sgpr_private_segment_wavefront_offset 0
		.amdhsa_system_sgpr_workgroup_id_x 1
		.amdhsa_system_sgpr_workgroup_id_y 1
		.amdhsa_system_sgpr_workgroup_id_z 0
		.amdhsa_system_sgpr_workgroup_info 0
		.amdhsa_system_vgpr_workitem_id 0
		.amdhsa_next_free_vgpr 17
		.amdhsa_next_free_sgpr 21
		.amdhsa_accum_offset 20
		.amdhsa_reserve_vcc 1
		.amdhsa_reserve_flat_scratch 0
		.amdhsa_float_round_mode_32 0
		.amdhsa_float_round_mode_16_64 0
		.amdhsa_float_denorm_mode_32 3
		.amdhsa_float_denorm_mode_16_64 3
		.amdhsa_dx10_clamp 1
		.amdhsa_ieee_mode 1
		.amdhsa_fp16_overflow 0
		.amdhsa_tg_split 0
		.amdhsa_exception_fp_ieee_invalid_op 0
		.amdhsa_exception_fp_denorm_src 0
		.amdhsa_exception_fp_ieee_div_zero 0
		.amdhsa_exception_fp_ieee_overflow 0
		.amdhsa_exception_fp_ieee_underflow 0
		.amdhsa_exception_fp_ieee_inexact 0
		.amdhsa_exception_int_div_zero 0
	.end_amdhsa_kernel
	.section	.text._ZL12ssm_conv_f32ILb0ELm128ELm4EEvPKfS1_S1_iiiiPfiiil,"axG",@progbits,_ZL12ssm_conv_f32ILb0ELm128ELm4EEvPKfS1_S1_iiiiPfiiil,comdat
.Lfunc_end12:
	.size	_ZL12ssm_conv_f32ILb0ELm128ELm4EEvPKfS1_S1_iiiiPfiiil, .Lfunc_end12-_ZL12ssm_conv_f32ILb0ELm128ELm4EEvPKfS1_S1_iiiiPfiiil
                                        ; -- End function
	.section	.AMDGPU.csdata,"",@progbits
; Kernel info:
; codeLenInByte = 828
; NumSgprs: 25
; NumVgprs: 17
; NumAgprs: 0
; TotalNumVgprs: 17
; ScratchSize: 0
; MemoryBound: 0
; FloatMode: 240
; IeeeMode: 1
; LDSByteSize: 0 bytes/workgroup (compile time only)
; SGPRBlocks: 3
; VGPRBlocks: 2
; NumSGPRsForWavesPerEU: 25
; NumVGPRsForWavesPerEU: 17
; AccumOffset: 20
; Occupancy: 8
; WaveLimiterHint : 0
; COMPUTE_PGM_RSRC2:SCRATCH_EN: 0
; COMPUTE_PGM_RSRC2:USER_SGPR: 6
; COMPUTE_PGM_RSRC2:TRAP_HANDLER: 0
; COMPUTE_PGM_RSRC2:TGID_X_EN: 1
; COMPUTE_PGM_RSRC2:TGID_Y_EN: 1
; COMPUTE_PGM_RSRC2:TGID_Z_EN: 0
; COMPUTE_PGM_RSRC2:TIDIG_COMP_CNT: 0
; COMPUTE_PGM_RSRC3_GFX90A:ACCUM_OFFSET: 4
; COMPUTE_PGM_RSRC3_GFX90A:TG_SPLIT: 0
	.section	.text._ZL23ssm_conv_long_token_f32ILb0ELm128ELm4ELl32EEvPKfS1_S1_iiiiPfiiil,"axG",@progbits,_ZL23ssm_conv_long_token_f32ILb0ELm128ELm4ELl32EEvPKfS1_S1_iiiiPfiiil,comdat
	.globl	_ZL23ssm_conv_long_token_f32ILb0ELm128ELm4ELl32EEvPKfS1_S1_iiiiPfiiil ; -- Begin function _ZL23ssm_conv_long_token_f32ILb0ELm128ELm4ELl32EEvPKfS1_S1_iiiiPfiiil
	.p2align	8
	.type	_ZL23ssm_conv_long_token_f32ILb0ELm128ELm4ELl32EEvPKfS1_S1_iiiiPfiiil,@function
_ZL23ssm_conv_long_token_f32ILb0ELm128ELm4ELl32EEvPKfS1_S1_iiiiPfiiil: ; @_ZL23ssm_conv_long_token_f32ILb0ELm128ELm4ELl32EEvPKfS1_S1_iiiiPfiiil
; %bb.0:
	s_load_dwordx4 s[0:3], s[4:5], 0x18
	s_load_dwordx2 s[12:13], s[4:5], 0x0
	s_mov_b32 s10, s7
	v_mov_b32_e32 v1, s10
	s_waitcnt lgkmcnt(0)
	s_mul_i32 s2, s6, s2
	s_ashr_i32 s7, s2, 31
	s_add_u32 s2, s12, s2
	s_addc_u32 s7, s13, s7
	s_ashr_i32 s11, s10, 31
	s_lshl_b64 s[12:13], s[10:11], 7
	s_ashr_i32 s9, s1, 31
	s_mul_i32 s9, s12, s9
	s_mul_hi_u32 s10, s12, s1
	v_alignbit_b32 v1, s11, v1, 25
	s_add_i32 s10, s10, s9
	s_mul_i32 s9, s12, s1
	v_mul_lo_u32 v1, v1, s1
	v_mov_b32_e32 v2, s9
	v_add_u32_e32 v1, s10, v1
	v_mov_b32_e32 v3, s7
	v_add_co_u32_e32 v2, vcc, s2, v2
	s_ashr_i32 s9, s8, 31
	v_addc_co_u32_e32 v3, vcc, v3, v1, vcc
	s_lshl_b64 s[14:15], s[8:9], 5
	s_ashr_i32 s2, s0, 31
	v_mov_b32_e32 v1, s8
	v_alignbit_b32 v1, s9, v1, 27
	s_mul_i32 s2, s14, s2
	s_mul_hi_u32 s7, s14, s0
	v_mul_lo_u32 v1, v1, s0
	s_add_i32 s7, s7, s2
	s_mul_i32 s0, s14, s0
	v_add_u32_e32 v4, s7, v1
	v_add_co_u32_e32 v1, vcc, s0, v2
	v_mul_u32_u24_e32 v2, 0x751, v0
	v_lshrrev_b32_e32 v7, 16, v2
	v_mul_lo_u16_e32 v2, 35, v7
	v_sub_u16_e32 v2, v0, v2
	v_or_b32_e32 v6, 0x80, v2
	v_mul_lo_u16_e32 v8, 0xeb, v6
	v_lshrrev_b16_e32 v8, 13, v8
	v_addc_co_u32_e32 v3, vcc, v3, v4, vcc
	s_ashr_i32 s2, s1, 2
	v_add_u32_e32 v15, v7, v8
	v_mul_lo_u16_e32 v8, 35, v8
	v_mad_u64_u32 v[4:5], s[0:1], s2, v7, v[2:3]
	v_sub_u16_e32 v6, v6, v8
	v_ashrrev_i32_e32 v5, 31, v4
	v_and_b32_e32 v6, 0xff, v6
	v_lshlrev_b64 v[4:5], 2, v[4:5]
	v_mad_u64_u32 v[8:9], s[0:1], v15, s2, v[6:7]
	v_add_co_u32_e32 v4, vcc, v1, v4
	v_ashrrev_i32_e32 v9, 31, v8
	v_addc_co_u32_e32 v5, vcc, v3, v5, vcc
	v_lshlrev_b64 v[8:9], 2, v[8:9]
	v_add_co_u32_e32 v10, vcc, v1, v8
	v_or_b32_e32 v8, 0x80, v6
	v_addc_co_u32_e32 v11, vcc, v3, v9, vcc
	v_mul_lo_u16_e32 v9, 0xeb, v8
	v_lshrrev_b16_e32 v9, 13, v9
	v_add_u32_e32 v19, v15, v9
	v_mul_lo_u16_e32 v9, 35, v9
	v_sub_u16_e32 v8, v8, v9
	v_and_b32_e32 v8, 0xff, v8
	v_mad_u64_u32 v[12:13], s[0:1], v19, s2, v[8:9]
	v_or_b32_e32 v9, 0x80, v8
	v_mul_lo_u16_e32 v14, 0xeb, v9
	v_lshrrev_b16_e32 v14, 13, v14
	v_add_u32_e32 v22, v19, v14
	v_mul_lo_u16_e32 v14, 35, v14
	v_sub_u16_e32 v9, v9, v14
	v_and_b32_e32 v14, 0xff, v9
	v_or_b32_e32 v9, 0x80, v14
	v_mul_lo_u16_e32 v18, 0xeb, v9
	v_lshrrev_b16_e32 v18, 13, v18
	v_ashrrev_i32_e32 v13, 31, v12
	v_add_u32_e32 v23, v22, v18
	v_mul_lo_u16_e32 v18, 35, v18
	v_lshlrev_b64 v[12:13], 2, v[12:13]
	v_mad_u64_u32 v[16:17], s[0:1], v22, s2, v[14:15]
	v_sub_u16_e32 v9, v9, v18
	v_add_co_u32_e32 v12, vcc, v1, v12
	v_ashrrev_i32_e32 v17, 31, v16
	v_and_b32_e32 v18, 0xff, v9
	v_addc_co_u32_e32 v13, vcc, v3, v13, vcc
	v_lshlrev_b64 v[16:17], 2, v[16:17]
	v_mad_u64_u32 v[20:21], s[0:1], v23, s2, v[18:19]
	v_add_co_u32_e32 v16, vcc, v1, v16
	v_ashrrev_i32_e32 v21, 31, v20
	v_addc_co_u32_e32 v17, vcc, v3, v17, vcc
	v_lshlrev_b64 v[20:21], 2, v[20:21]
	v_add_co_u32_e32 v20, vcc, v1, v20
	v_addc_co_u32_e32 v21, vcc, v3, v21, vcc
	global_load_dword v24, v[4:5], off
	global_load_dword v25, v[10:11], off
	;; [unrolled: 1-line block ×5, first 2 shown]
	v_or_b32_e32 v4, 0x80, v18
	v_mul_lo_u16_e32 v5, 0xeb, v4
	v_lshrrev_b16_e32 v5, 13, v5
	v_add_u32_e32 v11, v23, v5
	v_mul_lo_u16_e32 v5, 35, v5
	v_sub_u16_e32 v4, v4, v5
	v_and_b32_e32 v10, 0xff, v4
	v_mad_u64_u32 v[4:5], s[0:1], v11, s2, v[10:11]
	v_ashrrev_i32_e32 v5, 31, v4
	v_lshlrev_b64 v[4:5], 2, v[4:5]
	v_add_co_u32_e32 v4, vcc, v1, v4
	v_addc_co_u32_e32 v5, vcc, v3, v5, vcc
	global_load_dword v29, v[4:5], off
	v_mad_u32_u24 v2, v7, 35, v2
	v_lshl_add_u32 v30, v2, 2, 0
	v_or_b32_e32 v2, 0x80, v10
	v_mul_lo_u16_e32 v4, 0xeb, v2
	v_lshrrev_b16_e32 v4, 13, v4
	v_add_u32_e32 v5, v11, v4
	v_mul_lo_u16_e32 v4, 35, v4
	v_sub_u16_e32 v2, v2, v4
	v_and_b32_e32 v2, 0xff, v2
	v_or_b32_e32 v4, 0x80, v2
	v_mul_lo_u16_e32 v7, 0xeb, v4
	v_mad_u64_u32 v[12:13], s[0:1], v5, s2, v[2:3]
	v_lshrrev_b16_e32 v9, 13, v7
	v_ashrrev_i32_e32 v13, 31, v12
	v_add_u32_e32 v7, v5, v9
	v_mul_lo_u16_e32 v9, 35, v9
	v_lshlrev_b64 v[12:13], 2, v[12:13]
	v_sub_u16_e32 v4, v4, v9
	v_add_co_u32_e32 v16, vcc, v1, v12
	v_and_b32_e32 v4, 0xff, v4
	v_addc_co_u32_e32 v17, vcc, v3, v13, vcc
	v_mad_u64_u32 v[12:13], s[0:1], v7, s2, v[4:5]
	v_ashrrev_i32_e32 v13, 31, v12
	v_lshlrev_b64 v[12:13], 2, v[12:13]
	v_add_co_u32_e32 v20, vcc, v1, v12
	v_addc_co_u32_e32 v21, vcc, v3, v13, vcc
	global_load_dword v9, v[16:17], off
	global_load_dword v13, v[20:21], off
	v_mad_u32_u24 v6, v15, 35, v6
	v_lshl_add_u32 v6, v6, 2, 0
	s_movk_i32 s7, 0x80
	s_waitcnt vmcnt(7)
	ds_write_b32 v30, v24
	s_waitcnt vmcnt(6)
	ds_write_b32 v6, v25
	v_mad_u32_u24 v6, v19, 35, v8
	v_lshl_add_u32 v6, v6, 2, 0
	s_waitcnt vmcnt(5)
	ds_write_b32 v6, v26
	v_mad_u32_u24 v6, v22, 35, v14
	v_lshl_add_u32 v6, v6, 2, 0
	s_waitcnt vmcnt(4)
	ds_write_b32 v6, v27
	v_mad_u32_u24 v6, v23, 35, v18
	v_lshl_add_u32 v6, v6, 2, 0
	s_waitcnt vmcnt(3)
	ds_write_b32 v6, v28
	v_mad_u32_u24 v6, v11, 35, v10
	v_lshl_add_u32 v6, v6, 2, 0
	s_waitcnt vmcnt(2)
	ds_write_b32 v6, v29
	v_or_b32_e32 v6, 0x80, v4
	v_mul_lo_u16_e32 v8, 0xeb, v6
	v_lshrrev_b16_e32 v8, 13, v8
	v_add_u32_e32 v17, v7, v8
	v_mul_lo_u16_e32 v8, 35, v8
	v_sub_u16_e32 v6, v6, v8
	v_and_b32_e32 v6, 0xff, v6
	v_or_b32_e32 v8, 0x80, v6
	v_mul_lo_u16_e32 v12, 0xeb, v8
	v_lshrrev_b16_e32 v12, 13, v12
	v_add_u32_e32 v21, v17, v12
	v_mul_lo_u16_e32 v12, 35, v12
	v_sub_u16_e32 v8, v8, v12
	v_and_b32_e32 v8, 0xff, v8
	;; [unrolled: 7-line block ×3, first 2 shown]
	v_or_b32_e32 v16, 0x80, v12
	v_mul_lo_u16_e32 v20, 0xeb, v16
	v_lshrrev_b16_e32 v20, 13, v20
	v_add_u32_e32 v47, v43, v20
	v_mul_lo_u16_e32 v20, 35, v20
	v_mad_u64_u32 v[10:11], s[0:1], v17, s2, v[6:7]
	v_sub_u16_e32 v16, v16, v20
	v_ashrrev_i32_e32 v11, 31, v10
	v_and_b32_e32 v16, 0xff, v16
	v_lshlrev_b64 v[10:11], 2, v[10:11]
	s_waitcnt vmcnt(1)
	v_mad_u64_u32 v[14:15], s[0:1], v21, s2, v[8:9]
	v_or_b32_e32 v20, 0x80, v16
	v_add_co_u32_e32 v10, vcc, v1, v10
	v_ashrrev_i32_e32 v15, 31, v14
	v_mul_lo_u16_e32 v24, 0xeb, v20
	v_addc_co_u32_e32 v11, vcc, v3, v11, vcc
	v_lshlrev_b64 v[14:15], 2, v[14:15]
	s_waitcnt vmcnt(0)
	v_mad_u64_u32 v[18:19], s[0:1], v43, s2, v[12:13]
	v_lshrrev_b16_e32 v24, 13, v24
	v_add_co_u32_e32 v14, vcc, v1, v14
	v_ashrrev_i32_e32 v19, 31, v18
	v_add_u32_e32 v51, v47, v24
	v_mul_lo_u16_e32 v24, 35, v24
	v_addc_co_u32_e32 v15, vcc, v3, v15, vcc
	v_lshlrev_b64 v[18:19], 2, v[18:19]
	v_mad_u64_u32 v[22:23], s[0:1], v47, s2, v[16:17]
	v_sub_u16_e32 v20, v20, v24
	v_add_co_u32_e32 v18, vcc, v1, v18
	v_ashrrev_i32_e32 v23, 31, v22
	v_and_b32_e32 v20, 0xff, v20
	v_addc_co_u32_e32 v19, vcc, v3, v19, vcc
	v_lshlrev_b64 v[22:23], 2, v[22:23]
	v_mad_u64_u32 v[24:25], s[0:1], v51, s2, v[20:21]
	v_add_co_u32_e32 v22, vcc, v1, v22
	v_ashrrev_i32_e32 v25, 31, v24
	v_addc_co_u32_e32 v23, vcc, v3, v23, vcc
	v_lshlrev_b64 v[24:25], 2, v[24:25]
	v_add_co_u32_e32 v28, vcc, v1, v24
	v_or_b32_e32 v24, 0x80, v20
	v_addc_co_u32_e32 v29, vcc, v3, v25, vcc
	v_mul_lo_u16_e32 v25, 0xeb, v24
	v_lshrrev_b16_e32 v25, 13, v25
	v_add_u32_e32 v54, v51, v25
	v_mul_lo_u16_e32 v25, 35, v25
	v_sub_u16_e32 v24, v24, v25
	v_and_b32_e32 v24, 0xff, v24
	v_mad_u64_u32 v[26:27], s[0:1], v54, s2, v[24:25]
	v_ashrrev_i32_e32 v27, 31, v26
	v_lshlrev_b64 v[26:27], 2, v[26:27]
	v_or_b32_e32 v25, 0x80, v24
	v_add_co_u32_e32 v32, vcc, v1, v26
	v_mul_lo_u16_e32 v26, 0xeb, v25
	v_lshrrev_b16_e32 v26, 13, v26
	v_addc_co_u32_e32 v33, vcc, v3, v27, vcc
	v_add_u32_e32 v27, v54, v26
	v_mul_lo_u16_e32 v26, 35, v26
	v_sub_u16_e32 v25, v25, v26
	v_and_b32_e32 v26, 0xff, v25
	v_mad_u64_u32 v[30:31], s[0:1], v27, s2, v[26:27]
	v_ashrrev_i32_e32 v31, 31, v30
	v_lshlrev_b64 v[30:31], 2, v[30:31]
	v_or_b32_e32 v25, 0x80, v26
	v_add_co_u32_e32 v36, vcc, v1, v30
	v_mul_lo_u16_e32 v30, 0xeb, v25
	v_lshrrev_b16_e32 v30, 13, v30
	v_addc_co_u32_e32 v37, vcc, v3, v31, vcc
	v_add_u32_e32 v31, v27, v30
	v_mul_lo_u16_e32 v30, 35, v30
	v_sub_u16_e32 v25, v25, v30
	v_and_b32_e32 v30, 0xff, v25
	v_mad_u64_u32 v[34:35], s[0:1], v31, s2, v[30:31]
	v_ashrrev_i32_e32 v35, 31, v34
	v_lshlrev_b64 v[34:35], 2, v[34:35]
	v_or_b32_e32 v25, 0x80, v30
	v_add_co_u32_e32 v38, vcc, v1, v34
	v_mul_lo_u16_e32 v34, 0xeb, v25
	v_lshrrev_b16_e32 v34, 13, v34
	v_addc_co_u32_e32 v39, vcc, v3, v35, vcc
	v_add_u32_e32 v35, v31, v34
	v_mul_lo_u16_e32 v34, 35, v34
	v_sub_u16_e32 v25, v25, v34
	v_and_b32_e32 v34, 0xff, v25
	v_or_b32_e32 v25, 0x80, v34
	v_mul_lo_u16_e32 v42, 0xeb, v25
	v_lshrrev_b16_e32 v42, 13, v42
	v_add_u32_e32 v55, v35, v42
	v_mul_lo_u16_e32 v42, 35, v42
	v_sub_u16_e32 v25, v25, v42
	v_and_b32_e32 v42, 0xff, v25
	v_or_b32_e32 v25, 0x80, v42
	v_mul_lo_u16_e32 v46, 0xeb, v25
	v_lshrrev_b16_e32 v46, 13, v46
	v_mul_lo_u16_e32 v48, 35, v46
	v_sub_u16_e32 v25, v25, v48
	v_add_u32_e32 v56, v55, v46
	v_and_b32_e32 v46, 0xff, v25
	v_mad_u64_u32 v[40:41], s[0:1], v35, s2, v[34:35]
	v_or_b32_e32 v25, 0x80, v46
	v_ashrrev_i32_e32 v41, 31, v40
	v_mul_lo_u16_e32 v50, 0xeb, v25
	v_lshlrev_b64 v[40:41], 2, v[40:41]
	v_mad_u64_u32 v[44:45], s[0:1], v55, s2, v[42:43]
	v_lshrrev_b16_e32 v50, 13, v50
	v_add_co_u32_e32 v40, vcc, v1, v40
	v_ashrrev_i32_e32 v45, 31, v44
	v_mul_lo_u16_e32 v52, 35, v50
	v_addc_co_u32_e32 v41, vcc, v3, v41, vcc
	v_lshlrev_b64 v[44:45], 2, v[44:45]
	v_mad_u64_u32 v[48:49], s[0:1], v56, s2, v[46:47]
	v_sub_u16_e32 v25, v25, v52
	v_add_co_u32_e32 v44, vcc, v1, v44
	v_ashrrev_i32_e32 v49, 31, v48
	v_add_u32_e32 v57, v56, v50
	v_and_b32_e32 v50, 0xff, v25
	v_addc_co_u32_e32 v45, vcc, v3, v45, vcc
	v_lshlrev_b64 v[48:49], 2, v[48:49]
	v_mad_u64_u32 v[52:53], s[0:1], v57, s2, v[50:51]
	v_add_co_u32_e32 v48, vcc, v1, v48
	v_ashrrev_i32_e32 v53, 31, v52
	v_addc_co_u32_e32 v49, vcc, v3, v49, vcc
	v_lshlrev_b64 v[52:53], 2, v[52:53]
	v_add_co_u32_e32 v52, vcc, v1, v52
	v_addc_co_u32_e32 v53, vcc, v3, v53, vcc
	global_load_dword v25, v[10:11], off
	global_load_dword v58, v[14:15], off
	;; [unrolled: 1-line block ×7, first 2 shown]
                                        ; kill: killed $vgpr28 killed $vgpr29
                                        ; kill: killed $vgpr10 killed $vgpr11
                                        ; kill: killed $vgpr32 killed $vgpr33
                                        ; kill: killed $vgpr14 killed $vgpr15
                                        ; kill: killed $vgpr36 killed $vgpr37
                                        ; kill: killed $vgpr18 killed $vgpr19
                                        ; kill: killed $vgpr22 killed $vgpr23
	global_load_dword v14, v[38:39], off
	global_load_dword v15, v[40:41], off
	;; [unrolled: 1-line block ×5, first 2 shown]
	v_mad_u64_u32 v[10:11], s[0:1], v5, 35, v[2:3]
	v_lshl_add_u32 v2, v10, 2, 0
	v_mad_u64_u32 v[4:5], s[0:1], v7, 35, v[4:5]
	ds_write_b32 v2, v9
	v_lshl_add_u32 v2, v4, 2, 0
	v_mad_u64_u32 v[4:5], s[0:1], v17, 35, v[6:7]
	ds_write_b32 v2, v13
	v_lshl_add_u32 v2, v4, 2, 0
	v_mad_u64_u32 v[4:5], s[0:1], v21, 35, v[8:9]
	s_waitcnt vmcnt(11)
	ds_write_b32 v2, v25
	v_lshl_add_u32 v2, v4, 2, 0
	v_mad_u64_u32 v[4:5], s[0:1], v43, 35, v[12:13]
	s_waitcnt vmcnt(10)
	;; [unrolled: 4-line block ×11, first 2 shown]
	ds_write_b32 v2, v19
	v_lshl_add_u32 v2, v4, 2, 0
	s_waitcnt vmcnt(0)
	ds_write_b32 v2, v22
	v_or_b32_e32 v2, 0x80, v50
	v_mul_lo_u16_e32 v4, 0xeb, v2
	v_lshrrev_b16_e32 v5, 13, v4
	v_add_u32_e32 v4, v57, v5
	v_mul_lo_u16_e32 v5, 35, v5
	v_sub_u16_e32 v2, v2, v5
	v_and_b32_e32 v2, 0xff, v2
	v_cmp_gt_u32_e32 vcc, s7, v4
	s_and_saveexec_b64 s[0:1], vcc
	s_cbranch_execz .LBB13_2
; %bb.1:
	v_mad_u64_u32 v[6:7], s[8:9], v4, s2, v[2:3]
	v_ashrrev_i32_e32 v7, 31, v6
	v_lshlrev_b64 v[6:7], 2, v[6:7]
	v_add_co_u32_e32 v6, vcc, v1, v6
	v_addc_co_u32_e32 v7, vcc, v3, v7, vcc
	global_load_dword v5, v[6:7], off
	v_mad_u64_u32 v[6:7], s[8:9], v4, 35, v[2:3]
	v_lshl_add_u32 v6, v6, 2, 0
	s_waitcnt vmcnt(0)
	ds_write_b32 v6, v5
.LBB13_2:
	s_or_b64 exec, exec, s[0:1]
	v_or_b32_e32 v2, 0x80, v2
	v_mul_lo_u16_e32 v5, 0xeb, v2
	v_lshrrev_b16_e32 v5, 13, v5
	v_add_u32_e32 v4, v4, v5
	v_mul_lo_u16_e32 v5, 35, v5
	v_sub_u16_e32 v2, v2, v5
	v_and_b32_e32 v2, 0xff, v2
	v_cmp_gt_u32_e32 vcc, s7, v4
	s_and_saveexec_b64 s[0:1], vcc
	s_cbranch_execz .LBB13_4
; %bb.3:
	v_mad_u64_u32 v[6:7], s[8:9], v4, s2, v[2:3]
	v_ashrrev_i32_e32 v7, 31, v6
	v_lshlrev_b64 v[6:7], 2, v[6:7]
	v_add_co_u32_e32 v6, vcc, v1, v6
	v_addc_co_u32_e32 v7, vcc, v3, v7, vcc
	global_load_dword v5, v[6:7], off
	v_mad_u64_u32 v[6:7], s[8:9], v4, 35, v[2:3]
	v_lshl_add_u32 v6, v6, 2, 0
	s_waitcnt vmcnt(0)
	ds_write_b32 v6, v5
.LBB13_4:
	s_or_b64 exec, exec, s[0:1]
	;; [unrolled: 23-line block ×8, first 2 shown]
	s_load_dwordx4 s[8:11], s[4:5], 0x8
	s_load_dwordx2 s[0:1], s[4:5], 0x28
	s_movk_i32 s7, 0x380
	v_cmp_gt_u32_e32 vcc, s7, v0
	s_and_saveexec_b64 s[16:17], vcc
	s_cbranch_execz .LBB13_37
; %bb.17:
	v_or_b32_e32 v2, 0x80, v2
	v_mul_lo_u16_e32 v5, 0xeb, v2
	v_lshrrev_b16_e32 v5, 13, v5
	v_add_u32_e32 v4, v4, v5
	v_mul_lo_u16_e32 v5, 35, v5
	s_movk_i32 s7, 0x80
	v_sub_u16_e32 v2, v2, v5
	v_and_b32_e32 v2, 0xff, v2
	v_cmp_gt_u32_e32 vcc, s7, v4
	s_and_saveexec_b64 s[18:19], vcc
	s_cbranch_execz .LBB13_19
; %bb.18:
	v_mad_u64_u32 v[6:7], s[20:21], v4, s2, v[2:3]
	v_ashrrev_i32_e32 v7, 31, v6
	v_lshlrev_b64 v[6:7], 2, v[6:7]
	v_add_co_u32_e32 v6, vcc, v1, v6
	v_addc_co_u32_e32 v7, vcc, v3, v7, vcc
	global_load_dword v5, v[6:7], off
	v_mad_u64_u32 v[6:7], s[20:21], v4, 35, v[2:3]
	v_lshl_add_u32 v6, v6, 2, 0
	s_waitcnt vmcnt(0)
	ds_write_b32 v6, v5
.LBB13_19:
	s_or_b64 exec, exec, s[18:19]
	s_movk_i32 s7, 0x300
	v_cmp_gt_u32_e32 vcc, s7, v0
	s_and_b64 exec, exec, vcc
	s_cbranch_execz .LBB13_37
; %bb.20:
	v_or_b32_e32 v2, 0x80, v2
	v_mul_lo_u16_e32 v5, 0xeb, v2
	v_lshrrev_b16_e32 v5, 13, v5
	v_add_u32_e32 v4, v4, v5
	v_mul_lo_u16_e32 v5, 35, v5
	s_movk_i32 s7, 0x80
	v_sub_u16_e32 v2, v2, v5
	v_and_b32_e32 v2, 0xff, v2
	v_cmp_gt_u32_e32 vcc, s7, v4
	s_and_saveexec_b64 s[18:19], vcc
	s_cbranch_execz .LBB13_22
; %bb.21:
	v_mad_u64_u32 v[6:7], s[20:21], v4, s2, v[2:3]
	v_ashrrev_i32_e32 v7, 31, v6
	v_lshlrev_b64 v[6:7], 2, v[6:7]
	v_add_co_u32_e32 v6, vcc, v1, v6
	v_addc_co_u32_e32 v7, vcc, v3, v7, vcc
	global_load_dword v5, v[6:7], off
	v_mad_u64_u32 v[6:7], s[20:21], v4, 35, v[2:3]
	v_lshl_add_u32 v6, v6, 2, 0
	s_waitcnt vmcnt(0)
	ds_write_b32 v6, v5
.LBB13_22:
	s_or_b64 exec, exec, s[18:19]
	s_movk_i32 s7, 0x280
	v_cmp_gt_u32_e32 vcc, s7, v0
	s_and_b64 exec, exec, vcc
	;; [unrolled: 29-line block ×5, first 2 shown]
	s_cbranch_execz .LBB13_37
; %bb.32:
	v_or_b32_e32 v2, 0x80, v2
	v_mul_lo_u16_e32 v5, 0xeb, v2
	v_lshrrev_b16_e32 v5, 13, v5
	v_add_u32_e32 v4, v4, v5
	v_mul_lo_u16_e32 v5, 35, v5
	s_movk_i32 s7, 0x80
	v_sub_u16_e32 v2, v2, v5
	v_and_b32_e32 v2, 0xff, v2
	v_cmp_gt_u32_e32 vcc, s7, v4
	s_and_saveexec_b64 s[18:19], vcc
	s_cbranch_execz .LBB13_34
; %bb.33:
	v_mad_u64_u32 v[6:7], s[20:21], v4, s2, v[2:3]
	v_ashrrev_i32_e32 v7, 31, v6
	v_lshlrev_b64 v[6:7], 2, v[6:7]
	v_add_co_u32_e32 v6, vcc, v1, v6
	v_addc_co_u32_e32 v7, vcc, v3, v7, vcc
	global_load_dword v5, v[6:7], off
	v_mad_u64_u32 v[6:7], s[20:21], v4, 35, v[2:3]
	v_lshl_add_u32 v6, v6, 2, 0
	s_waitcnt vmcnt(0)
	ds_write_b32 v6, v5
.LBB13_34:
	s_or_b64 exec, exec, s[18:19]
	v_cmp_gt_u32_e32 vcc, s7, v0
	s_and_b64 exec, exec, vcc
	s_cbranch_execz .LBB13_37
; %bb.35:
	v_or_b32_e32 v5, 0x80, v2
	v_mul_lo_u16_e32 v2, 0xeb, v5
	v_lshrrev_b16_e32 v6, 13, v2
	v_add_u32_e32 v2, v4, v6
	v_cmp_gt_u32_e32 vcc, s7, v2
	s_and_b64 exec, exec, vcc
	s_cbranch_execz .LBB13_37
; %bb.36:
	v_mul_lo_u16_e32 v4, 35, v6
	v_sub_u16_e32 v4, v5, v4
	v_and_b32_e32 v4, 0xff, v4
	v_mad_u64_u32 v[6:7], s[18:19], v2, s2, v[4:5]
	v_ashrrev_i32_e32 v7, 31, v6
	v_lshlrev_b64 v[6:7], 2, v[6:7]
	v_add_co_u32_e32 v6, vcc, v1, v6
	v_addc_co_u32_e32 v7, vcc, v3, v7, vcc
	global_load_dword v1, v[6:7], off
	v_mad_u64_u32 v[2:3], s[18:19], v2, 35, v[4:5]
	v_lshl_add_u32 v2, v2, 2, 0
	s_waitcnt vmcnt(0)
	ds_write_b32 v2, v1
.LBB13_37:
	s_or_b64 exec, exec, s[16:17]
	s_ashr_i32 s2, s3, 31
	s_mul_hi_u32 s7, s12, s3
	s_mul_i32 s2, s12, s2
	s_add_i32 s2, s7, s2
	s_mul_i32 s7, s13, s3
	s_add_i32 s2, s2, s7
	s_mul_i32 s7, s12, s3
	s_waitcnt lgkmcnt(0)
	s_add_u32 s7, s8, s7
	s_addc_u32 s2, s9, s2
	s_ashr_i32 s3, s3, 2
	v_mul_lo_u32 v2, s3, v0
	v_ashrrev_i32_e32 v3, 31, v2
	v_lshlrev_b64 v[2:3], 2, v[2:3]
	v_mov_b32_e32 v1, s2
	v_add_co_u32_e32 v2, vcc, s7, v2
	v_addc_co_u32_e32 v3, vcc, v1, v3, vcc
	s_barrier
	global_load_dwordx4 v[2:5], v[2:3], off
	s_cmp_eq_u64 s[10:11], 0
	v_lshlrev_b32_e32 v18, 2, v0
	s_cbranch_scc1 .LBB13_39
; %bb.38:
	s_lshl_b64 s[2:3], s[12:13], 2
	s_add_u32 s2, s10, s2
	s_addc_u32 s3, s11, s3
	global_load_dword v6, v18, s[2:3]
	s_branch .LBB13_40
.LBB13_39:
	v_mov_b32_e32 v6, 0
.LBB13_40:
	s_load_dwordx2 s[2:3], s[4:5], 0x40
	s_waitcnt lgkmcnt(0)
	s_sub_u32 s8, s2, s14
	s_subb_u32 s9, s3, s15
	v_cmp_lt_i64_e64 s[2:3], s[8:9], 1
	s_and_b64 vcc, exec, s[2:3]
	s_cbranch_vccnz .LBB13_48
; %bb.41:
	s_load_dwordx4 s[16:19], s[4:5], 0x30
	s_mov_b32 s5, 0
	v_mul_u32_u24_e32 v19, 35, v0
	s_waitcnt lgkmcnt(0)
	s_ashr_i32 s2, s17, 31
	s_mul_hi_u32 s3, s14, s17
	s_mul_i32 s2, s14, s2
	s_mul_i32 s4, s15, s17
	s_add_i32 s15, s3, s2
	s_ashr_i32 s2, s16, 31
	s_mul_hi_u32 s3, s12, s16
	s_mul_i32 s2, s12, s2
	s_mul_i32 s10, s6, s18
	s_add_i32 s2, s3, s2
	s_mul_i32 s3, s13, s16
	s_ashr_i32 s11, s10, 31
	s_add_i32 s15, s15, s4
	s_add_i32 s13, s2, s3
	s_ashr_i32 s2, s17, 2
	v_cmp_lt_i64_e64 s[6:7], s[8:9], 32
	s_and_b64 s[6:7], s[6:7], exec
	s_cselect_b32 s7, s9, 0
	s_cselect_b32 s6, s8, 32
	s_mul_i32 s14, s14, s17
	s_mul_i32 s12, s12, s16
	v_cmp_gt_i64_e64 s[16:17], s[6:7], 1
	s_and_b64 s[16:17], s[16:17], exec
	s_cselect_b32 s7, s7, 0
	s_cselect_b32 s6, s6, 1
	s_cmp_eq_u64 s[8:9], 1
	s_cselect_b64 s[8:9], -1, 0
	s_cmp_lg_u32 s2, 1
	s_cselect_b64 s[16:17], -1, 0
	s_or_b64 s[8:9], s[8:9], s[16:17]
	s_and_b64 vcc, exec, s[8:9]
	s_cbranch_vccnz .LBB13_45
; %bb.42:
	s_add_u32 s3, s0, s10
	s_addc_u32 s4, s1, s11
	s_add_u32 s3, s3, s14
	v_lshl_add_u32 v20, v19, 2, 0
	s_addc_u32 s4, s4, s15
	ds_read2_b32 v[16:17], v20 offset1:1
	s_add_u32 s3, s3, s12
	s_addc_u32 s4, s4, s13
	v_mov_b32_e32 v1, s4
	v_add_co_u32_e32 v0, vcc, s3, v18
	s_and_b32 s4, s6, 62
	v_addc_co_u32_e32 v1, vcc, 0, v1, vcc
	s_waitcnt vmcnt(0)
	v_mov_b32_e32 v8, v2
	v_mov_b32_e32 v9, v2
	;; [unrolled: 1-line block ×9, first 2 shown]
	s_mov_b64 s[8:9], s[4:5]
.LBB13_43:                              ; =>This Inner Loop Header: Depth=1
	s_waitcnt lgkmcnt(0)
	v_pk_fma_f32 v[22:23], v[8:9], v[16:17], 0 op_sel_hi:[1,1,0]
	ds_read2_b32 v[24:25], v20 offset0:1 offset1:2
	ds_read2_b32 v[16:17], v20 offset0:2 offset1:3
	;; [unrolled: 1-line block ×3, first 2 shown]
	s_add_u32 s8, s8, -2
	v_add_u32_e32 v21, 8, v20
	s_waitcnt lgkmcnt(2)
	v_pk_fma_f32 v[22:23], v[10:11], v[24:25], v[22:23]
	s_waitcnt lgkmcnt(1)
	v_pk_fma_f32 v[22:23], v[12:13], v[16:17], v[22:23]
	;; [unrolled: 2-line block ×3, first 2 shown]
	v_pk_add_f32 v[22:23], v[6:7], v[22:23]
	s_addc_u32 s9, s9, -1
	global_store_dwordx2 v[0:1], v[22:23], off
	v_add_co_u32_e32 v0, vcc, 8, v0
	v_mov_b32_e32 v20, v21
	s_cmp_lg_u64 s[8:9], 0
	v_addc_co_u32_e32 v1, vcc, 0, v1, vcc
	s_cbranch_scc1 .LBB13_43
; %bb.44:
	s_cmp_lg_u64 s[6:7], s[4:5]
	s_cselect_b64 s[8:9], -1, 0
	s_and_b64 vcc, exec, s[8:9]
	s_cbranch_vccnz .LBB13_46
	s_branch .LBB13_48
.LBB13_45:
	s_mov_b64 s[4:5], 0
	s_cbranch_execz .LBB13_48
.LBB13_46:
	s_ashr_i32 s3, s2, 31
	s_sub_u32 s6, s4, s6
	s_subb_u32 s7, s5, s7
	s_add_u32 s5, s12, s14
	s_mul_hi_i32 s9, s4, s2
	s_mul_i32 s8, s4, s2
	s_addc_u32 s12, s13, s15
	s_lshl_b64 s[8:9], s[8:9], 2
	s_add_u32 s5, s5, s8
	s_addc_u32 s8, s12, s9
	s_add_u32 s0, s0, s10
	s_addc_u32 s1, s1, s11
	;; [unrolled: 2-line block ×3, first 2 shown]
	v_mov_b32_e32 v1, s1
	v_add_co_u32_e32 v0, vcc, s0, v18
	s_lshl_b64 s[2:3], s[2:3], 2
	v_add_u32_e32 v7, s4, v19
	v_addc_co_u32_e32 v1, vcc, 0, v1, vcc
	v_lshl_add_u32 v7, v7, 2, 0
	v_mov_b32_e32 v8, s3
	s_waitcnt vmcnt(0)
.LBB13_47:                              ; =>This Inner Loop Header: Depth=1
	ds_read2_b32 v[10:11], v7 offset1:1
	ds_read2_b32 v[12:13], v7 offset0:2 offset1:3
	s_add_u32 s6, s6, 1
	s_addc_u32 s7, s7, 0
	s_cmp_eq_u64 s[6:7], 0
	s_waitcnt lgkmcnt(1)
	v_pk_mul_f32 v[10:11], v[2:3], v[10:11]
	v_add_f32_e32 v9, 0, v10
	s_waitcnt lgkmcnt(0)
	v_pk_mul_f32 v[12:13], v[4:5], v[12:13]
	v_add_f32_e32 v9, v9, v11
	v_add_f32_e32 v9, v9, v12
	v_add_f32_e32 v9, v9, v13
	s_cselect_b64 s[0:1], -1, 0
	v_add_f32_e32 v9, v6, v9
	s_andn2_b64 vcc, exec, s[0:1]
	global_store_dword v[0:1], v9, off
	v_add_co_u32_e64 v0, s[0:1], s2, v0
	v_add_u32_e32 v7, 4, v7
	v_addc_co_u32_e64 v1, s[0:1], v1, v8, s[0:1]
	s_cbranch_vccnz .LBB13_47
.LBB13_48:
	s_endpgm
	.section	.rodata,"a",@progbits
	.p2align	6, 0x0
	.amdhsa_kernel _ZL23ssm_conv_long_token_f32ILb0ELm128ELm4ELl32EEvPKfS1_S1_iiiiPfiiil
		.amdhsa_group_segment_fixed_size 0
		.amdhsa_private_segment_fixed_size 0
		.amdhsa_kernarg_size 72
		.amdhsa_user_sgpr_count 6
		.amdhsa_user_sgpr_private_segment_buffer 1
		.amdhsa_user_sgpr_dispatch_ptr 0
		.amdhsa_user_sgpr_queue_ptr 0
		.amdhsa_user_sgpr_kernarg_segment_ptr 1
		.amdhsa_user_sgpr_dispatch_id 0
		.amdhsa_user_sgpr_flat_scratch_init 0
		.amdhsa_user_sgpr_kernarg_preload_length 0
		.amdhsa_user_sgpr_kernarg_preload_offset 0
		.amdhsa_user_sgpr_private_segment_size 0
		.amdhsa_uses_dynamic_stack 0
		.amdhsa_system_sgpr_private_segment_wavefront_offset 0
		.amdhsa_system_sgpr_workgroup_id_x 1
		.amdhsa_system_sgpr_workgroup_id_y 1
		.amdhsa_system_sgpr_workgroup_id_z 1
		.amdhsa_system_sgpr_workgroup_info 0
		.amdhsa_system_vgpr_workitem_id 0
		.amdhsa_next_free_vgpr 64
		.amdhsa_next_free_sgpr 22
		.amdhsa_accum_offset 64
		.amdhsa_reserve_vcc 1
		.amdhsa_reserve_flat_scratch 0
		.amdhsa_float_round_mode_32 0
		.amdhsa_float_round_mode_16_64 0
		.amdhsa_float_denorm_mode_32 3
		.amdhsa_float_denorm_mode_16_64 3
		.amdhsa_dx10_clamp 1
		.amdhsa_ieee_mode 1
		.amdhsa_fp16_overflow 0
		.amdhsa_tg_split 0
		.amdhsa_exception_fp_ieee_invalid_op 0
		.amdhsa_exception_fp_denorm_src 0
		.amdhsa_exception_fp_ieee_div_zero 0
		.amdhsa_exception_fp_ieee_overflow 0
		.amdhsa_exception_fp_ieee_underflow 0
		.amdhsa_exception_fp_ieee_inexact 0
		.amdhsa_exception_int_div_zero 0
	.end_amdhsa_kernel
	.section	.text._ZL23ssm_conv_long_token_f32ILb0ELm128ELm4ELl32EEvPKfS1_S1_iiiiPfiiil,"axG",@progbits,_ZL23ssm_conv_long_token_f32ILb0ELm128ELm4ELl32EEvPKfS1_S1_iiiiPfiiil,comdat
.Lfunc_end13:
	.size	_ZL23ssm_conv_long_token_f32ILb0ELm128ELm4ELl32EEvPKfS1_S1_iiiiPfiiil, .Lfunc_end13-_ZL23ssm_conv_long_token_f32ILb0ELm128ELm4ELl32EEvPKfS1_S1_iiiiPfiiil
                                        ; -- End function
	.section	.AMDGPU.csdata,"",@progbits
; Kernel info:
; codeLenInByte = 4960
; NumSgprs: 26
; NumVgprs: 64
; NumAgprs: 0
; TotalNumVgprs: 64
; ScratchSize: 0
; MemoryBound: 0
; FloatMode: 240
; IeeeMode: 1
; LDSByteSize: 0 bytes/workgroup (compile time only)
; SGPRBlocks: 3
; VGPRBlocks: 7
; NumSGPRsForWavesPerEU: 26
; NumVGPRsForWavesPerEU: 64
; AccumOffset: 64
; Occupancy: 8
; WaveLimiterHint : 0
; COMPUTE_PGM_RSRC2:SCRATCH_EN: 0
; COMPUTE_PGM_RSRC2:USER_SGPR: 6
; COMPUTE_PGM_RSRC2:TRAP_HANDLER: 0
; COMPUTE_PGM_RSRC2:TGID_X_EN: 1
; COMPUTE_PGM_RSRC2:TGID_Y_EN: 1
; COMPUTE_PGM_RSRC2:TGID_Z_EN: 1
; COMPUTE_PGM_RSRC2:TIDIG_COMP_CNT: 0
; COMPUTE_PGM_RSRC3_GFX90A:ACCUM_OFFSET: 15
; COMPUTE_PGM_RSRC3_GFX90A:TG_SPLIT: 0
	.section	.text._ZL12ssm_conv_f32ILb0ELm128ELm5EEvPKfS1_S1_iiiiPfiiil,"axG",@progbits,_ZL12ssm_conv_f32ILb0ELm128ELm5EEvPKfS1_S1_iiiiPfiiil,comdat
	.globl	_ZL12ssm_conv_f32ILb0ELm128ELm5EEvPKfS1_S1_iiiiPfiiil ; -- Begin function _ZL12ssm_conv_f32ILb0ELm128ELm5EEvPKfS1_S1_iiiiPfiiil
	.p2align	8
	.type	_ZL12ssm_conv_f32ILb0ELm128ELm5EEvPKfS1_S1_iiiiPfiiil,@function
_ZL12ssm_conv_f32ILb0ELm128ELm5EEvPKfS1_S1_iiiiPfiiil: ; @_ZL12ssm_conv_f32ILb0ELm128ELm5EEvPKfS1_S1_iiiiPfiiil
; %bb.0:
	s_load_dwordx2 s[0:1], s[4:5], 0x10
	s_mov_b32 s12, s7
	s_ashr_i32 s13, s7, 31
	s_lshl_b64 s[18:19], s[12:13], 7
	v_lshlrev_b32_e32 v12, 2, v0
	s_waitcnt lgkmcnt(0)
	s_cmp_eq_u64 s[0:1], 0
	s_cbranch_scc1 .LBB14_2
; %bb.1:
	s_lshl_b64 s[2:3], s[18:19], 2
	s_add_u32 s0, s0, s2
	s_addc_u32 s1, s1, s3
	global_load_dword v5, v12, s[0:1]
	s_load_dwordx2 s[16:17], s[4:5], 0x40
	s_waitcnt lgkmcnt(0)
	v_cmp_lt_i64_e64 s[0:1], s[16:17], 1
	s_and_b64 vcc, exec, s[0:1]
	s_cbranch_vccz .LBB14_3
	s_branch .LBB14_6
.LBB14_2:
	v_mov_b32_e32 v5, 0
	s_load_dwordx2 s[16:17], s[4:5], 0x40
	s_waitcnt lgkmcnt(0)
	v_cmp_lt_i64_e64 s[0:1], s[16:17], 1
	s_and_b64 vcc, exec, s[0:1]
	s_cbranch_vccnz .LBB14_6
.LBB14_3:
	s_load_dwordx4 s[8:11], s[4:5], 0x1c
	s_load_dwordx4 s[0:3], s[4:5], 0x0
	v_mov_b32_e32 v1, s12
	v_alignbit_b32 v1, s13, v1, 25
	s_waitcnt lgkmcnt(0)
	s_ashr_i32 s7, s10, 31
	s_mul_hi_u32 s11, s18, s10
	s_mul_i32 s7, s18, s7
	s_add_i32 s11, s11, s7
	s_mul_i32 s7, s18, s10
	v_mov_b32_e32 v4, s7
	v_mov_b32_e32 v6, s3
	v_add_co_u32_e32 v4, vcc, s2, v4
	s_load_dwordx2 s[2:3], s[4:5], 0x28
	s_load_dwordx4 s[12:15], s[4:5], 0x30
	s_ashr_i32 s4, s8, 31
	s_mul_hi_u32 s5, s18, s8
	s_mul_i32 s4, s18, s4
	v_mul_lo_u32 v1, v1, s10
	s_ashr_i32 s10, s10, 2
	s_add_i32 s4, s5, s4
	s_mul_i32 s5, s19, s8
	v_mul_lo_u32 v2, s10, v0
	s_mul_i32 s7, s6, s9
	s_add_i32 s10, s4, s5
	s_waitcnt lgkmcnt(0)
	s_mul_i32 s4, s6, s14
	s_ashr_i32 s9, s7, 31
	s_ashr_i32 s5, s4, 31
	s_add_u32 s14, s2, s4
	s_addc_u32 s15, s3, s5
	s_ashr_i32 s6, s12, 31
	s_mul_hi_u32 s20, s18, s12
	s_mul_i32 s6, s18, s6
	s_add_i32 s6, s20, s6
	s_mul_i32 s19, s19, s12
	s_add_i32 s6, s6, s19
	s_mul_i32 s12, s18, s12
	s_add_u32 s14, s14, s12
	s_addc_u32 s15, s15, s6
	v_add_u32_e32 v1, s11, v1
	s_mul_i32 s11, s18, s8
	s_add_u32 s18, s0, s7
	s_addc_u32 s19, s1, s9
	v_ashrrev_i32_e32 v3, 31, v2
	s_add_u32 s18, s18, s11
	v_addc_co_u32_e32 v1, vcc, v6, v1, vcc
	v_lshlrev_b64 v[2:3], 2, v[2:3]
	s_addc_u32 s19, s19, s10
	s_ashr_i32 s8, s8, 2
	v_add_co_u32_e32 v16, vcc, v4, v2
	v_mul_lo_u32 v0, s8, v0
	v_addc_co_u32_e32 v17, vcc, v1, v3, vcc
	v_ashrrev_i32_e32 v1, 31, v0
	v_lshlrev_b64 v[10:11], 2, v[0:1]
	v_mov_b32_e32 v0, s19
	v_add_co_u32_e32 v18, vcc, s18, v10
	v_addc_co_u32_e32 v19, vcc, v0, v11, vcc
	global_load_dwordx4 v[0:3], v[18:19], off
	global_load_dwordx4 v[6:9], v[16:17], off
	global_load_dword v4, v[18:19], off offset:16
	global_load_dword v14, v[16:17], off offset:16
	s_cmp_eq_u64 s[16:17], 1
	s_waitcnt vmcnt(2)
	v_fma_f32 v13, v6, v0, 0
	v_fmac_f32_e32 v13, v7, v1
	v_fmac_f32_e32 v13, v8, v2
	;; [unrolled: 1-line block ×3, first 2 shown]
	s_waitcnt vmcnt(0)
	v_fmac_f32_e32 v13, v14, v4
	v_add_f32_e32 v13, v5, v13
	global_store_dword v12, v13, s[14:15]
	s_cbranch_scc1 .LBB14_6
; %bb.4:
	s_ashr_i32 s14, s13, 2
	s_ashr_i32 s15, s14, 31
	s_add_u32 s0, s0, s7
	s_addc_u32 s1, s1, s9
	s_add_u32 s0, s0, s11
	s_addc_u32 s1, s1, s10
	s_add_u32 s8, s16, -1
	s_addc_u32 s9, s17, -1
	s_lshl_b64 s[10:11], s[14:15], 2
	v_add_co_u32_e32 v10, vcc, s0, v10
	s_add_u32 s0, s12, s10
	v_mov_b32_e32 v13, s1
	s_addc_u32 s1, s6, s11
	s_add_u32 s2, s2, s4
	v_addc_co_u32_e32 v11, vcc, v13, v11, vcc
	s_addc_u32 s3, s3, s5
	v_add_co_u32_e32 v10, vcc, 20, v10
	s_add_u32 s0, s2, s0
	v_addc_co_u32_e32 v11, vcc, 0, v11, vcc
	s_addc_u32 s1, s3, s1
	v_mov_b32_e32 v13, s1
	v_add_co_u32_e32 v12, vcc, s0, v12
	v_addc_co_u32_e32 v13, vcc, 0, v13, vcc
	s_mov_b64 s[12:13], 1
	s_mov_b64 s[14:15], 5
	s_mov_b64 s[16:17], 4
	s_mov_b64 s[18:19], 3
	s_mov_b64 s[20:21], 2
	s_mov_b64 s[22:23], 0
	v_mov_b32_e32 v15, s11
.LBB14_5:                               ; =>This Inner Loop Header: Depth=1
	s_add_u32 s0, 0, 0x3330c000
	s_addc_u32 s1, 0, 0xb3
	s_mul_hi_u32 s3, s0, -5
	s_add_i32 s1, s1, 0x33333280
	s_sub_i32 s3, s3, s0
	s_mul_i32 s6, s1, -5
	s_mul_i32 s2, s0, -5
	s_add_i32 s3, s3, s6
	s_mul_hi_u32 s4, s0, s2
	s_mul_i32 s7, s0, s3
	s_mul_hi_u32 s6, s0, s3
	s_add_u32 s4, s4, s7
	s_mul_hi_u32 s5, s1, s2
	s_mul_i32 s2, s1, s2
	s_addc_u32 s6, 0, s6
	s_add_u32 s2, s4, s2
	s_mul_hi_u32 s11, s1, s3
	s_addc_u32 s2, s6, s5
	s_mul_i32 s3, s1, s3
	s_addc_u32 s4, s11, 0
	global_load_dword v16, v[10:11], off
	v_add_co_u32_e32 v10, vcc, 4, v10
	s_add_u32 s2, s2, s3
	v_addc_co_u32_e32 v11, vcc, 0, v11, vcc
	v_mov_b32_e32 v17, s2
	s_addc_u32 s3, 0, s4
	v_add_co_u32_e32 v17, vcc, s0, v17
	s_cmp_lg_u64 vcc, 0
	v_readfirstlane_b32 s0, v17
	s_addc_u32 s1, s1, s3
	s_mul_hi_u32 s2, s12, s0
	s_mul_i32 s36, s12, s1
	s_mul_hi_u32 s3, s13, s0
	s_mul_i32 s4, s13, s0
	s_mul_hi_u32 s5, s14, s0
	s_mul_hi_u32 s6, s15, s0
	s_mul_i32 s7, s15, s0
	s_mul_hi_u32 s11, s16, s0
	;; [unrolled: 3-line block ×7, first 2 shown]
	s_mul_i32 s40, s14, s1
	s_mul_hi_u32 s41, s15, s1
	s_mul_i32 s42, s15, s1
	s_mul_hi_u32 s43, s16, s1
	;; [unrolled: 2-line block ×9, first 2 shown]
	s_mul_i32 s58, s23, s1
	s_add_u32 s1, s2, s36
	s_addc_u32 s0, 0, s0
	s_add_u32 s1, s1, s4
	s_addc_u32 s0, s0, s3
	s_addc_u32 s1, s37, 0
	s_add_u32 s0, s0, s38
	s_addc_u32 s1, 0, s1
	s_mul_hi_u32 s2, s0, 5
	s_mul_i32 s0, s0, 5
	s_mul_i32 s1, s1, 5
	v_mov_b32_e32 v17, s0
	s_add_i32 s2, s2, s1
	v_sub_co_u32_e32 v17, vcc, s12, v17
	s_cmp_lg_u64 vcc, 0
	v_subrev_co_u32_e32 v18, vcc, 5, v17
	v_cmp_lt_u32_e64 s[0:1], 4, v17
	s_subb_u32 s2, s13, s2
	v_cndmask_b32_e64 v19, 0, -1, s[0:1]
	v_cmp_lt_u32_e64 s[0:1], 4, v18
	s_cmp_lg_u64 vcc, 0
	v_cndmask_b32_e64 v20, 0, -1, s[0:1]
	s_subb_u32 s0, s2, 0
	s_cmp_eq_u32 s0, 0
	s_cselect_b64 vcc, -1, 0
	v_cndmask_b32_e32 v20, -1, v20, vcc
	v_add_u32_e32 v21, -5, v18
	s_cmp_eq_u32 s2, 0
	v_cmp_ne_u32_e32 vcc, 0, v20
	v_cndmask_b32_e32 v18, v18, v21, vcc
	s_cselect_b64 vcc, -1, 0
	s_add_u32 s0, s5, s40
	s_addc_u32 s1, 0, s39
	s_add_u32 s0, s0, s7
	s_addc_u32 s0, s1, s6
	s_addc_u32 s1, s41, 0
	v_cndmask_b32_e32 v19, -1, v19, vcc
	s_add_u32 s0, s0, s42
	v_cmp_ne_u32_e32 vcc, 0, v19
	s_addc_u32 s1, 0, s1
	s_mul_hi_u32 s2, s0, 5
	s_mul_i32 s0, s0, 5
	v_cndmask_b32_e32 v17, v17, v18, vcc
	s_mul_i32 s1, s1, 5
	v_mov_b32_e32 v18, s0
	s_add_i32 s2, s2, s1
	v_sub_co_u32_e32 v18, vcc, s14, v18
	s_cmp_lg_u64 vcc, 0
	v_subrev_co_u32_e32 v19, vcc, 5, v18
	v_cmp_lt_u32_e64 s[0:1], 4, v18
	s_subb_u32 s2, s15, s2
	v_cndmask_b32_e64 v20, 0, -1, s[0:1]
	v_cmp_lt_u32_e64 s[0:1], 4, v19
	s_cmp_lg_u64 vcc, 0
	v_cndmask_b32_e64 v21, 0, -1, s[0:1]
	s_subb_u32 s0, s2, 0
	s_cmp_eq_u32 s0, 0
	s_cselect_b64 vcc, -1, 0
	v_cndmask_b32_e32 v21, -1, v21, vcc
	v_add_u32_e32 v22, -5, v19
	s_cmp_eq_u32 s2, 0
	v_cmp_ne_u32_e32 vcc, 0, v21
	v_cndmask_b32_e32 v19, v19, v22, vcc
	s_cselect_b64 vcc, -1, 0
	s_add_u32 s0, s11, s44
	s_addc_u32 s1, 0, s43
	s_add_u32 s0, s0, s25
	s_addc_u32 s0, s1, s24
	s_addc_u32 s1, s45, 0
	v_cndmask_b32_e32 v20, -1, v20, vcc
	s_add_u32 s0, s0, s46
	v_cmp_ne_u32_e32 vcc, 0, v20
	s_addc_u32 s1, 0, s1
	s_mul_hi_u32 s2, s0, 5
	s_mul_i32 s0, s0, 5
	v_cndmask_b32_e32 v18, v18, v19, vcc
	;; [unrolled: 33-line block ×5, first 2 shown]
	s_mul_i32 s1, s1, 5
	v_mov_b32_e32 v22, s0
	s_add_i32 s2, s2, s1
	v_sub_co_u32_e32 v22, vcc, s22, v22
	s_cmp_lg_u64 vcc, 0
	v_subrev_co_u32_e32 v23, vcc, 5, v22
	v_cmp_lt_u32_e64 s[0:1], 4, v22
	s_subb_u32 s2, s23, s2
	v_cndmask_b32_e64 v24, 0, -1, s[0:1]
	v_cmp_lt_u32_e64 s[0:1], 4, v23
	s_cmp_lg_u64 vcc, 0
	v_cndmask_b32_e64 v25, 0, -1, s[0:1]
	s_subb_u32 s0, s2, 0
	s_cmp_eq_u32 s0, 0
	s_cselect_b64 vcc, -1, 0
	v_cndmask_b32_e32 v25, -1, v25, vcc
	v_add_u32_e32 v26, -5, v23
	s_cmp_eq_u32 s2, 0
	v_cmp_ne_u32_e32 vcc, 0, v25
	v_cndmask_b32_e32 v23, v23, v26, vcc
	s_cselect_b64 vcc, -1, 0
	v_cndmask_b32_e32 v24, -1, v24, vcc
	v_cmp_ne_u32_e32 vcc, 0, v24
	v_cndmask_b32_e32 v22, v22, v23, vcc
	v_cmp_eq_u32_e32 vcc, 4, v22
	s_waitcnt vmcnt(0)
	v_cndmask_b32_e32 v4, v4, v16, vcc
	v_cmp_eq_u32_e32 vcc, 3, v22
	v_cndmask_b32_e32 v3, v3, v16, vcc
	v_cmp_eq_u32_e32 vcc, 2, v22
	s_add_u32 s12, s12, 1
	v_cndmask_b32_e32 v2, v2, v16, vcc
	v_cmp_eq_u32_e32 vcc, 1, v22
	s_addc_u32 s13, s13, 0
	v_cndmask_b32_e32 v1, v1, v16, vcc
	v_cmp_eq_u32_e32 vcc, 0, v22
	v_cndmask_b32_e32 v0, v0, v16, vcc
	s_add_u32 s14, s14, 1
	v_cmp_eq_u32_e64 s[6:7], 1, v17
	v_cmp_eq_u32_e32 vcc, 1, v21
	v_cndmask_b32_e64 v16, v0, v1, s[6:7]
	s_addc_u32 s15, s15, 0
	v_cmp_eq_u32_e64 s[6:7], 2, v17
	v_cmp_eq_u32_e64 s[0:1], 1, v20
	v_cndmask_b32_e32 v22, v0, v1, vcc
	v_cmp_eq_u32_e32 vcc, 2, v21
	v_cndmask_b32_e64 v16, v16, v2, s[6:7]
	s_add_u32 s16, s16, 1
	v_cmp_eq_u32_e64 s[6:7], 3, v17
	v_cmp_eq_u32_e64 s[2:3], 1, v19
	;; [unrolled: 1-line block ×3, first 2 shown]
	v_cndmask_b32_e64 v23, v0, v1, s[0:1]
	v_cmp_eq_u32_e64 s[0:1], 2, v20
	v_cndmask_b32_e32 v22, v22, v2, vcc
	v_cmp_eq_u32_e32 vcc, 3, v21
	v_cndmask_b32_e64 v16, v16, v3, s[6:7]
	s_addc_u32 s17, s17, 0
	v_cmp_eq_u32_e64 s[6:7], 4, v17
	v_cndmask_b32_e64 v24, v0, v1, s[2:3]
	v_cmp_eq_u32_e64 s[2:3], 2, v19
	v_cndmask_b32_e64 v25, v0, v1, s[4:5]
	;; [unrolled: 2-line block ×3, first 2 shown]
	v_cmp_eq_u32_e64 s[0:1], 3, v20
	v_cndmask_b32_e32 v22, v22, v3, vcc
	v_cmp_eq_u32_e32 vcc, 4, v21
	v_cndmask_b32_e64 v16, v16, v4, s[6:7]
	s_add_u32 s18, s18, 1
	v_cndmask_b32_e64 v24, v24, v2, s[2:3]
	v_cmp_eq_u32_e64 s[2:3], 3, v19
	v_cndmask_b32_e64 v25, v25, v2, s[4:5]
	v_cmp_eq_u32_e64 s[4:5], 3, v18
	;; [unrolled: 2-line block ×3, first 2 shown]
	v_cndmask_b32_e32 v17, v22, v4, vcc
	v_fma_f32 v16, v6, v16, 0
	s_addc_u32 s19, s19, 0
	v_cndmask_b32_e64 v20, v24, v3, s[2:3]
	v_cmp_eq_u32_e64 s[2:3], 4, v19
	v_cndmask_b32_e64 v19, v25, v3, s[4:5]
	v_cmp_eq_u32_e64 s[4:5], 4, v18
	v_cndmask_b32_e64 v18, v21, v4, s[0:1]
	v_fmac_f32_e32 v16, v7, v17
	s_add_u32 s8, s8, -1
	v_cndmask_b32_e64 v20, v20, v4, s[2:3]
	v_fmac_f32_e32 v16, v8, v18
	s_addc_u32 s9, s9, -1
	v_cndmask_b32_e64 v19, v19, v4, s[4:5]
	v_fmac_f32_e32 v16, v9, v20
	s_add_u32 s20, s20, 1
	v_fmac_f32_e32 v16, v14, v19
	s_addc_u32 s21, s21, 0
	v_add_f32_e32 v16, v5, v16
	s_add_u32 s22, s22, 1
	global_store_dword v[12:13], v16, off
	s_addc_u32 s23, s23, 0
	v_add_co_u32_e32 v12, vcc, s10, v12
	s_cmp_eq_u64 s[8:9], 0
	v_addc_co_u32_e32 v13, vcc, v13, v15, vcc
	s_cbranch_scc0 .LBB14_5
.LBB14_6:
	s_endpgm
	.section	.rodata,"a",@progbits
	.p2align	6, 0x0
	.amdhsa_kernel _ZL12ssm_conv_f32ILb0ELm128ELm5EEvPKfS1_S1_iiiiPfiiil
		.amdhsa_group_segment_fixed_size 0
		.amdhsa_private_segment_fixed_size 0
		.amdhsa_kernarg_size 72
		.amdhsa_user_sgpr_count 6
		.amdhsa_user_sgpr_private_segment_buffer 1
		.amdhsa_user_sgpr_dispatch_ptr 0
		.amdhsa_user_sgpr_queue_ptr 0
		.amdhsa_user_sgpr_kernarg_segment_ptr 1
		.amdhsa_user_sgpr_dispatch_id 0
		.amdhsa_user_sgpr_flat_scratch_init 0
		.amdhsa_user_sgpr_kernarg_preload_length 0
		.amdhsa_user_sgpr_kernarg_preload_offset 0
		.amdhsa_user_sgpr_private_segment_size 0
		.amdhsa_uses_dynamic_stack 0
		.amdhsa_system_sgpr_private_segment_wavefront_offset 0
		.amdhsa_system_sgpr_workgroup_id_x 1
		.amdhsa_system_sgpr_workgroup_id_y 1
		.amdhsa_system_sgpr_workgroup_id_z 0
		.amdhsa_system_sgpr_workgroup_info 0
		.amdhsa_system_vgpr_workitem_id 0
		.amdhsa_next_free_vgpr 27
		.amdhsa_next_free_sgpr 59
		.amdhsa_accum_offset 28
		.amdhsa_reserve_vcc 1
		.amdhsa_reserve_flat_scratch 0
		.amdhsa_float_round_mode_32 0
		.amdhsa_float_round_mode_16_64 0
		.amdhsa_float_denorm_mode_32 3
		.amdhsa_float_denorm_mode_16_64 3
		.amdhsa_dx10_clamp 1
		.amdhsa_ieee_mode 1
		.amdhsa_fp16_overflow 0
		.amdhsa_tg_split 0
		.amdhsa_exception_fp_ieee_invalid_op 0
		.amdhsa_exception_fp_denorm_src 0
		.amdhsa_exception_fp_ieee_div_zero 0
		.amdhsa_exception_fp_ieee_overflow 0
		.amdhsa_exception_fp_ieee_underflow 0
		.amdhsa_exception_fp_ieee_inexact 0
		.amdhsa_exception_int_div_zero 0
	.end_amdhsa_kernel
	.section	.text._ZL12ssm_conv_f32ILb0ELm128ELm5EEvPKfS1_S1_iiiiPfiiil,"axG",@progbits,_ZL12ssm_conv_f32ILb0ELm128ELm5EEvPKfS1_S1_iiiiPfiiil,comdat
.Lfunc_end14:
	.size	_ZL12ssm_conv_f32ILb0ELm128ELm5EEvPKfS1_S1_iiiiPfiiil, .Lfunc_end14-_ZL12ssm_conv_f32ILb0ELm128ELm5EEvPKfS1_S1_iiiiPfiiil
                                        ; -- End function
	.section	.AMDGPU.csdata,"",@progbits
; Kernel info:
; codeLenInByte = 2232
; NumSgprs: 63
; NumVgprs: 27
; NumAgprs: 0
; TotalNumVgprs: 27
; ScratchSize: 0
; MemoryBound: 0
; FloatMode: 240
; IeeeMode: 1
; LDSByteSize: 0 bytes/workgroup (compile time only)
; SGPRBlocks: 7
; VGPRBlocks: 3
; NumSGPRsForWavesPerEU: 63
; NumVGPRsForWavesPerEU: 27
; AccumOffset: 28
; Occupancy: 8
; WaveLimiterHint : 0
; COMPUTE_PGM_RSRC2:SCRATCH_EN: 0
; COMPUTE_PGM_RSRC2:USER_SGPR: 6
; COMPUTE_PGM_RSRC2:TRAP_HANDLER: 0
; COMPUTE_PGM_RSRC2:TGID_X_EN: 1
; COMPUTE_PGM_RSRC2:TGID_Y_EN: 1
; COMPUTE_PGM_RSRC2:TGID_Z_EN: 0
; COMPUTE_PGM_RSRC2:TIDIG_COMP_CNT: 0
; COMPUTE_PGM_RSRC3_GFX90A:ACCUM_OFFSET: 6
; COMPUTE_PGM_RSRC3_GFX90A:TG_SPLIT: 0
	.section	.text._ZL23ssm_conv_long_token_f32ILb0ELm128ELm5ELl32EEvPKfS1_S1_iiiiPfiiil,"axG",@progbits,_ZL23ssm_conv_long_token_f32ILb0ELm128ELm5ELl32EEvPKfS1_S1_iiiiPfiiil,comdat
	.globl	_ZL23ssm_conv_long_token_f32ILb0ELm128ELm5ELl32EEvPKfS1_S1_iiiiPfiiil ; -- Begin function _ZL23ssm_conv_long_token_f32ILb0ELm128ELm5ELl32EEvPKfS1_S1_iiiiPfiiil
	.p2align	8
	.type	_ZL23ssm_conv_long_token_f32ILb0ELm128ELm5ELl32EEvPKfS1_S1_iiiiPfiiil,@function
_ZL23ssm_conv_long_token_f32ILb0ELm128ELm5ELl32EEvPKfS1_S1_iiiiPfiiil: ; @_ZL23ssm_conv_long_token_f32ILb0ELm128ELm5ELl32EEvPKfS1_S1_iiiiPfiiil
; %bb.0:
	s_load_dwordx4 s[0:3], s[4:5], 0x18
	s_load_dwordx2 s[12:13], s[4:5], 0x0
	s_mov_b32 s10, s7
	v_mov_b32_e32 v1, s10
	s_waitcnt lgkmcnt(0)
	s_mul_i32 s2, s6, s2
	s_ashr_i32 s7, s2, 31
	s_add_u32 s2, s12, s2
	s_addc_u32 s7, s13, s7
	s_ashr_i32 s11, s10, 31
	s_lshl_b64 s[12:13], s[10:11], 7
	s_ashr_i32 s9, s1, 31
	s_mul_i32 s9, s12, s9
	s_mul_hi_u32 s10, s12, s1
	v_alignbit_b32 v1, s11, v1, 25
	s_add_i32 s10, s10, s9
	s_mul_i32 s9, s12, s1
	v_mul_lo_u32 v1, v1, s1
	v_mov_b32_e32 v2, s9
	v_add_u32_e32 v1, s10, v1
	v_mov_b32_e32 v3, s7
	v_add_co_u32_e32 v2, vcc, s2, v2
	s_ashr_i32 s9, s8, 31
	v_addc_co_u32_e32 v3, vcc, v3, v1, vcc
	s_lshl_b64 s[14:15], s[8:9], 5
	s_ashr_i32 s2, s0, 31
	v_mov_b32_e32 v1, s8
	v_alignbit_b32 v1, s9, v1, 27
	s_mul_i32 s2, s14, s2
	s_mul_hi_u32 s7, s14, s0
	v_mul_lo_u32 v1, v1, s0
	s_add_i32 s7, s7, s2
	s_mul_i32 s0, s14, s0
	v_add_u32_e32 v4, s7, v1
	v_add_co_u32_e32 v1, vcc, s0, v2
	v_mul_u32_u24_e32 v2, 0x71d, v0
	v_lshrrev_b32_e32 v7, 16, v2
	v_mul_lo_u16_e32 v2, 36, v7
	v_sub_u16_e32 v2, v0, v2
	v_or_b32_e32 v6, 0x80, v2
	v_mul_lo_u16_e32 v8, 57, v6
	v_lshrrev_b16_e32 v8, 11, v8
	v_addc_co_u32_e32 v3, vcc, v3, v4, vcc
	s_ashr_i32 s2, s1, 2
	v_add_u32_e32 v15, v7, v8
	v_mul_lo_u16_e32 v8, 36, v8
	v_mad_u64_u32 v[4:5], s[0:1], s2, v7, v[2:3]
	v_sub_u16_e32 v6, v6, v8
	v_ashrrev_i32_e32 v5, 31, v4
	v_and_b32_e32 v6, 0xff, v6
	v_lshlrev_b64 v[4:5], 2, v[4:5]
	v_mad_u64_u32 v[8:9], s[0:1], v15, s2, v[6:7]
	v_add_co_u32_e32 v4, vcc, v1, v4
	v_ashrrev_i32_e32 v9, 31, v8
	v_addc_co_u32_e32 v5, vcc, v3, v5, vcc
	v_lshlrev_b64 v[8:9], 2, v[8:9]
	v_add_co_u32_e32 v10, vcc, v1, v8
	v_or_b32_e32 v8, 0x80, v6
	v_addc_co_u32_e32 v11, vcc, v3, v9, vcc
	v_mul_lo_u16_e32 v9, 57, v8
	v_lshrrev_b16_e32 v9, 11, v9
	v_add_u32_e32 v19, v15, v9
	v_mul_lo_u16_e32 v9, 36, v9
	v_sub_u16_e32 v8, v8, v9
	v_and_b32_e32 v8, 0xff, v8
	v_mad_u64_u32 v[12:13], s[0:1], v19, s2, v[8:9]
	v_or_b32_e32 v9, 0x80, v8
	v_mul_lo_u16_e32 v14, 57, v9
	v_lshrrev_b16_e32 v14, 11, v14
	v_add_u32_e32 v22, v19, v14
	v_mul_lo_u16_e32 v14, 36, v14
	v_sub_u16_e32 v9, v9, v14
	v_and_b32_e32 v14, 0xff, v9
	v_or_b32_e32 v9, 0x80, v14
	v_mul_lo_u16_e32 v18, 57, v9
	v_lshrrev_b16_e32 v18, 11, v18
	v_ashrrev_i32_e32 v13, 31, v12
	v_add_u32_e32 v23, v22, v18
	v_mul_lo_u16_e32 v18, 36, v18
	v_lshlrev_b64 v[12:13], 2, v[12:13]
	v_mad_u64_u32 v[16:17], s[0:1], v22, s2, v[14:15]
	v_sub_u16_e32 v9, v9, v18
	v_add_co_u32_e32 v12, vcc, v1, v12
	v_ashrrev_i32_e32 v17, 31, v16
	v_and_b32_e32 v18, 0xff, v9
	v_addc_co_u32_e32 v13, vcc, v3, v13, vcc
	v_lshlrev_b64 v[16:17], 2, v[16:17]
	v_mad_u64_u32 v[20:21], s[0:1], v23, s2, v[18:19]
	v_add_co_u32_e32 v16, vcc, v1, v16
	v_ashrrev_i32_e32 v21, 31, v20
	v_addc_co_u32_e32 v17, vcc, v3, v17, vcc
	v_lshlrev_b64 v[20:21], 2, v[20:21]
	v_add_co_u32_e32 v20, vcc, v1, v20
	v_addc_co_u32_e32 v21, vcc, v3, v21, vcc
	global_load_dword v24, v[4:5], off
	global_load_dword v25, v[10:11], off
	;; [unrolled: 1-line block ×5, first 2 shown]
	v_or_b32_e32 v4, 0x80, v18
	v_mul_lo_u16_e32 v5, 57, v4
	v_lshrrev_b16_e32 v5, 11, v5
	v_add_u32_e32 v11, v23, v5
	v_mul_lo_u16_e32 v5, 36, v5
	v_sub_u16_e32 v4, v4, v5
	v_and_b32_e32 v10, 0xff, v4
	v_mad_u64_u32 v[4:5], s[0:1], v11, s2, v[10:11]
	v_ashrrev_i32_e32 v5, 31, v4
	v_lshlrev_b64 v[4:5], 2, v[4:5]
	v_add_co_u32_e32 v4, vcc, v1, v4
	v_addc_co_u32_e32 v5, vcc, v3, v5, vcc
	global_load_dword v29, v[4:5], off
	v_mad_u32_u24 v2, v7, 36, v2
	v_lshl_add_u32 v30, v2, 2, 0
	v_or_b32_e32 v2, 0x80, v10
	v_mul_lo_u16_e32 v4, 57, v2
	v_lshrrev_b16_e32 v4, 11, v4
	v_add_u32_e32 v5, v11, v4
	v_mul_lo_u16_e32 v4, 36, v4
	v_sub_u16_e32 v2, v2, v4
	v_and_b32_e32 v2, 0xff, v2
	v_or_b32_e32 v4, 0x80, v2
	v_mul_lo_u16_e32 v7, 57, v4
	v_mad_u64_u32 v[12:13], s[0:1], v5, s2, v[2:3]
	v_lshrrev_b16_e32 v9, 11, v7
	v_ashrrev_i32_e32 v13, 31, v12
	v_add_u32_e32 v7, v5, v9
	v_mul_lo_u16_e32 v9, 36, v9
	v_lshlrev_b64 v[12:13], 2, v[12:13]
	v_sub_u16_e32 v4, v4, v9
	v_add_co_u32_e32 v16, vcc, v1, v12
	v_and_b32_e32 v4, 0xff, v4
	v_addc_co_u32_e32 v17, vcc, v3, v13, vcc
	v_mad_u64_u32 v[12:13], s[0:1], v7, s2, v[4:5]
	v_ashrrev_i32_e32 v13, 31, v12
	v_lshlrev_b64 v[12:13], 2, v[12:13]
	v_add_co_u32_e32 v20, vcc, v1, v12
	v_addc_co_u32_e32 v21, vcc, v3, v13, vcc
	global_load_dword v9, v[16:17], off
	global_load_dword v13, v[20:21], off
	v_mad_u32_u24 v6, v15, 36, v6
	v_lshl_add_u32 v6, v6, 2, 0
	s_movk_i32 s7, 0x80
	s_waitcnt vmcnt(7)
	ds_write_b32 v30, v24
	s_waitcnt vmcnt(6)
	ds_write_b32 v6, v25
	v_mad_u32_u24 v6, v19, 36, v8
	v_lshl_add_u32 v6, v6, 2, 0
	s_waitcnt vmcnt(5)
	ds_write_b32 v6, v26
	v_mad_u32_u24 v6, v22, 36, v14
	v_lshl_add_u32 v6, v6, 2, 0
	s_waitcnt vmcnt(4)
	ds_write_b32 v6, v27
	v_mad_u32_u24 v6, v23, 36, v18
	v_lshl_add_u32 v6, v6, 2, 0
	s_waitcnt vmcnt(3)
	ds_write_b32 v6, v28
	v_mad_u32_u24 v6, v11, 36, v10
	v_lshl_add_u32 v6, v6, 2, 0
	s_waitcnt vmcnt(2)
	ds_write_b32 v6, v29
	v_or_b32_e32 v6, 0x80, v4
	v_mul_lo_u16_e32 v8, 57, v6
	v_lshrrev_b16_e32 v8, 11, v8
	v_add_u32_e32 v17, v7, v8
	v_mul_lo_u16_e32 v8, 36, v8
	v_sub_u16_e32 v6, v6, v8
	v_and_b32_e32 v6, 0xff, v6
	v_or_b32_e32 v8, 0x80, v6
	v_mul_lo_u16_e32 v12, 57, v8
	v_lshrrev_b16_e32 v12, 11, v12
	v_add_u32_e32 v19, v17, v12
	v_mul_lo_u16_e32 v12, 36, v12
	v_sub_u16_e32 v8, v8, v12
	v_and_b32_e32 v8, 0xff, v8
	;; [unrolled: 7-line block ×3, first 2 shown]
	v_mad_u64_u32 v[10:11], s[0:1], v17, s2, v[6:7]
	v_or_b32_e32 v16, 0x80, v12
	v_ashrrev_i32_e32 v11, 31, v10
	v_mul_lo_u16_e32 v18, 57, v16
	v_lshlrev_b64 v[10:11], 2, v[10:11]
	v_lshrrev_b16_e32 v18, 11, v18
	v_add_co_u32_e32 v10, vcc, v1, v10
	v_add_u32_e32 v47, v43, v18
	s_waitcnt vmcnt(1)
	v_mad_u64_u32 v[14:15], s[0:1], v19, s2, v[8:9]
	v_ashrrev_i32_e32 v15, 31, v14
	v_mul_lo_u16_e32 v18, 36, v18
	v_addc_co_u32_e32 v11, vcc, v3, v11, vcc
	v_lshlrev_b64 v[14:15], 2, v[14:15]
	s_waitcnt vmcnt(0)
	v_mad_u64_u32 v[20:21], s[0:1], v43, s2, v[12:13]
	v_sub_u16_e32 v16, v16, v18
	v_add_co_u32_e32 v14, vcc, v1, v14
	v_ashrrev_i32_e32 v21, 31, v20
	v_and_b32_e32 v16, 0xff, v16
	v_addc_co_u32_e32 v15, vcc, v3, v15, vcc
	v_lshlrev_b64 v[20:21], 2, v[20:21]
	v_mad_u64_u32 v[22:23], s[0:1], v47, s2, v[16:17]
	v_add_co_u32_e32 v20, vcc, v1, v20
	v_ashrrev_i32_e32 v23, 31, v22
	v_addc_co_u32_e32 v21, vcc, v3, v21, vcc
	v_lshlrev_b64 v[22:23], 2, v[22:23]
	v_or_b32_e32 v18, 0x80, v16
	v_add_co_u32_e32 v24, vcc, v1, v22
	v_mul_lo_u16_e32 v22, 57, v18
	v_lshrrev_b16_e32 v22, 11, v22
	v_add_u32_e32 v51, v47, v22
	v_mul_lo_u16_e32 v22, 36, v22
	v_sub_u16_e32 v18, v18, v22
	v_and_b32_e32 v18, 0xff, v18
	v_addc_co_u32_e32 v25, vcc, v3, v23, vcc
	v_mad_u64_u32 v[22:23], s[0:1], v51, s2, v[18:19]
	v_ashrrev_i32_e32 v23, 31, v22
	v_lshlrev_b64 v[22:23], 2, v[22:23]
	v_add_co_u32_e32 v28, vcc, v1, v22
	v_or_b32_e32 v22, 0x80, v18
	v_addc_co_u32_e32 v29, vcc, v3, v23, vcc
	v_mul_lo_u16_e32 v23, 57, v22
	v_lshrrev_b16_e32 v23, 11, v23
	v_add_u32_e32 v54, v51, v23
	v_mul_lo_u16_e32 v23, 36, v23
	v_sub_u16_e32 v22, v22, v23
	v_and_b32_e32 v22, 0xff, v22
	v_mad_u64_u32 v[26:27], s[0:1], v54, s2, v[22:23]
	v_ashrrev_i32_e32 v27, 31, v26
	v_lshlrev_b64 v[26:27], 2, v[26:27]
	v_or_b32_e32 v23, 0x80, v22
	v_add_co_u32_e32 v32, vcc, v1, v26
	v_mul_lo_u16_e32 v26, 57, v23
	v_lshrrev_b16_e32 v26, 11, v26
	v_addc_co_u32_e32 v33, vcc, v3, v27, vcc
	v_add_u32_e32 v27, v54, v26
	v_mul_lo_u16_e32 v26, 36, v26
	v_sub_u16_e32 v23, v23, v26
	v_and_b32_e32 v26, 0xff, v23
	v_mad_u64_u32 v[30:31], s[0:1], v27, s2, v[26:27]
	v_ashrrev_i32_e32 v31, 31, v30
	v_lshlrev_b64 v[30:31], 2, v[30:31]
	v_or_b32_e32 v23, 0x80, v26
	v_add_co_u32_e32 v36, vcc, v1, v30
	v_mul_lo_u16_e32 v30, 57, v23
	v_lshrrev_b16_e32 v30, 11, v30
	v_addc_co_u32_e32 v37, vcc, v3, v31, vcc
	;; [unrolled: 12-line block ×3, first 2 shown]
	v_add_u32_e32 v35, v31, v34
	v_mul_lo_u16_e32 v34, 36, v34
	v_sub_u16_e32 v23, v23, v34
	v_and_b32_e32 v34, 0xff, v23
	v_or_b32_e32 v23, 0x80, v34
	v_mul_lo_u16_e32 v42, 57, v23
	v_lshrrev_b16_e32 v42, 11, v42
	v_add_u32_e32 v55, v35, v42
	v_mul_lo_u16_e32 v42, 36, v42
	v_sub_u16_e32 v23, v23, v42
	v_and_b32_e32 v42, 0xff, v23
	v_or_b32_e32 v23, 0x80, v42
	v_mul_lo_u16_e32 v46, 57, v23
	v_lshrrev_b16_e32 v46, 11, v46
	v_mul_lo_u16_e32 v48, 36, v46
	v_sub_u16_e32 v23, v23, v48
	v_add_u32_e32 v56, v55, v46
	v_and_b32_e32 v46, 0xff, v23
	v_mad_u64_u32 v[40:41], s[0:1], v35, s2, v[34:35]
	v_or_b32_e32 v23, 0x80, v46
	v_ashrrev_i32_e32 v41, 31, v40
	v_mul_lo_u16_e32 v50, 57, v23
	v_lshlrev_b64 v[40:41], 2, v[40:41]
	v_mad_u64_u32 v[44:45], s[0:1], v55, s2, v[42:43]
	v_lshrrev_b16_e32 v50, 11, v50
	v_add_co_u32_e32 v40, vcc, v1, v40
	v_ashrrev_i32_e32 v45, 31, v44
	v_mul_lo_u16_e32 v52, 36, v50
	v_addc_co_u32_e32 v41, vcc, v3, v41, vcc
	v_lshlrev_b64 v[44:45], 2, v[44:45]
	v_mad_u64_u32 v[48:49], s[0:1], v56, s2, v[46:47]
	v_sub_u16_e32 v23, v23, v52
	v_add_co_u32_e32 v44, vcc, v1, v44
	v_ashrrev_i32_e32 v49, 31, v48
	v_add_u32_e32 v57, v56, v50
	v_and_b32_e32 v50, 0xff, v23
	v_addc_co_u32_e32 v45, vcc, v3, v45, vcc
	v_lshlrev_b64 v[48:49], 2, v[48:49]
	v_mad_u64_u32 v[52:53], s[0:1], v57, s2, v[50:51]
	v_add_co_u32_e32 v48, vcc, v1, v48
	v_ashrrev_i32_e32 v53, 31, v52
	v_addc_co_u32_e32 v49, vcc, v3, v49, vcc
	v_lshlrev_b64 v[52:53], 2, v[52:53]
	v_add_co_u32_e32 v52, vcc, v1, v52
	v_addc_co_u32_e32 v53, vcc, v3, v53, vcc
	global_load_dword v23, v[10:11], off
	global_load_dword v58, v[14:15], off
	;; [unrolled: 1-line block ×7, first 2 shown]
                                        ; kill: killed $vgpr36 killed $vgpr37
                                        ; kill: killed $vgpr20 killed $vgpr21
                                        ; kill: killed $vgpr24 killed $vgpr25
                                        ; kill: killed $vgpr28 killed $vgpr29
                                        ; kill: killed $vgpr10 killed $vgpr11
                                        ; kill: killed $vgpr32 killed $vgpr33
                                        ; kill: killed $vgpr14 killed $vgpr15
	global_load_dword v14, v[38:39], off
	global_load_dword v15, v[40:41], off
	;; [unrolled: 1-line block ×5, first 2 shown]
	v_mad_u64_u32 v[10:11], s[0:1], v5, 36, v[2:3]
	v_lshl_add_u32 v2, v10, 2, 0
	v_mad_u64_u32 v[4:5], s[0:1], v7, 36, v[4:5]
	ds_write_b32 v2, v9
	v_lshl_add_u32 v2, v4, 2, 0
	v_mad_u64_u32 v[4:5], s[0:1], v17, 36, v[6:7]
	ds_write_b32 v2, v13
	v_lshl_add_u32 v2, v4, 2, 0
	v_mad_u64_u32 v[4:5], s[0:1], v19, 36, v[8:9]
	s_waitcnt vmcnt(11)
	ds_write_b32 v2, v23
	v_lshl_add_u32 v2, v4, 2, 0
	v_mad_u64_u32 v[4:5], s[0:1], v43, 36, v[12:13]
	s_waitcnt vmcnt(10)
	ds_write_b32 v2, v58
	v_lshl_add_u32 v2, v4, 2, 0
	v_mad_u64_u32 v[4:5], s[0:1], v47, 36, v[16:17]
	s_waitcnt vmcnt(9)
	ds_write_b32 v2, v59
	v_lshl_add_u32 v2, v4, 2, 0
	v_mad_u64_u32 v[4:5], s[0:1], v51, 36, v[18:19]
	s_waitcnt vmcnt(8)
	ds_write_b32 v2, v60
	v_lshl_add_u32 v2, v4, 2, 0
	v_mad_u64_u32 v[4:5], s[0:1], v54, 36, v[22:23]
	s_waitcnt vmcnt(7)
	ds_write_b32 v2, v61
	v_lshl_add_u32 v2, v4, 2, 0
	v_mad_u64_u32 v[4:5], s[0:1], v27, 36, v[26:27]
	s_waitcnt vmcnt(6)
	ds_write_b32 v2, v62
	v_lshl_add_u32 v2, v4, 2, 0
	v_mad_u64_u32 v[4:5], s[0:1], v31, 36, v[30:31]
	s_waitcnt vmcnt(5)
	ds_write_b32 v2, v63
	v_lshl_add_u32 v2, v4, 2, 0
	v_mad_u64_u32 v[4:5], s[0:1], v35, 36, v[34:35]
	s_waitcnt vmcnt(4)
	ds_write_b32 v2, v14
	v_lshl_add_u32 v2, v4, 2, 0
	v_mad_u64_u32 v[4:5], s[0:1], v55, 36, v[42:43]
	s_waitcnt vmcnt(3)
	ds_write_b32 v2, v15
	v_lshl_add_u32 v2, v4, 2, 0
	v_mad_u64_u32 v[4:5], s[0:1], v56, 36, v[46:47]
	s_waitcnt vmcnt(2)
	ds_write_b32 v2, v20
	v_lshl_add_u32 v2, v4, 2, 0
	v_mad_u64_u32 v[4:5], s[0:1], v57, 36, v[50:51]
	s_waitcnt vmcnt(1)
	ds_write_b32 v2, v21
	v_lshl_add_u32 v2, v4, 2, 0
	s_waitcnt vmcnt(0)
	ds_write_b32 v2, v24
	v_or_b32_e32 v2, 0x80, v50
	v_mul_lo_u16_e32 v4, 57, v2
	v_lshrrev_b16_e32 v5, 11, v4
	v_add_u32_e32 v4, v57, v5
	v_mul_lo_u16_e32 v5, 36, v5
	v_sub_u16_e32 v2, v2, v5
	v_and_b32_e32 v2, 0xff, v2
	v_cmp_gt_u32_e32 vcc, s7, v4
	s_and_saveexec_b64 s[0:1], vcc
	s_cbranch_execz .LBB15_2
; %bb.1:
	v_mad_u64_u32 v[6:7], s[8:9], v4, s2, v[2:3]
	v_ashrrev_i32_e32 v7, 31, v6
	v_lshlrev_b64 v[6:7], 2, v[6:7]
	v_add_co_u32_e32 v6, vcc, v1, v6
	v_addc_co_u32_e32 v7, vcc, v3, v7, vcc
	global_load_dword v5, v[6:7], off
	v_mad_u64_u32 v[6:7], s[8:9], v4, 36, v[2:3]
	v_lshl_add_u32 v6, v6, 2, 0
	s_waitcnt vmcnt(0)
	ds_write_b32 v6, v5
.LBB15_2:
	s_or_b64 exec, exec, s[0:1]
	v_or_b32_e32 v2, 0x80, v2
	v_mul_lo_u16_e32 v5, 57, v2
	v_lshrrev_b16_e32 v5, 11, v5
	v_add_u32_e32 v4, v4, v5
	v_mul_lo_u16_e32 v5, 36, v5
	v_sub_u16_e32 v2, v2, v5
	v_and_b32_e32 v2, 0xff, v2
	v_cmp_gt_u32_e32 vcc, s7, v4
	s_and_saveexec_b64 s[0:1], vcc
	s_cbranch_execz .LBB15_4
; %bb.3:
	v_mad_u64_u32 v[6:7], s[8:9], v4, s2, v[2:3]
	v_ashrrev_i32_e32 v7, 31, v6
	v_lshlrev_b64 v[6:7], 2, v[6:7]
	v_add_co_u32_e32 v6, vcc, v1, v6
	v_addc_co_u32_e32 v7, vcc, v3, v7, vcc
	global_load_dword v5, v[6:7], off
	v_mad_u64_u32 v[6:7], s[8:9], v4, 36, v[2:3]
	v_lshl_add_u32 v6, v6, 2, 0
	s_waitcnt vmcnt(0)
	ds_write_b32 v6, v5
.LBB15_4:
	s_or_b64 exec, exec, s[0:1]
	;; [unrolled: 23-line block ×8, first 2 shown]
	v_or_b32_e32 v2, 0x80, v2
	v_mul_lo_u16_e32 v5, 57, v2
	v_lshrrev_b16_e32 v5, 11, v5
	v_add_u32_e32 v4, v4, v5
	v_mul_lo_u16_e32 v5, 36, v5
	s_movk_i32 s0, 0x80
	v_sub_u16_e32 v2, v2, v5
	v_and_b32_e32 v2, 0xff, v2
	v_cmp_gt_u32_e32 vcc, s0, v4
	s_and_saveexec_b64 s[0:1], vcc
	s_cbranch_execz .LBB15_18
; %bb.17:
	v_mad_u64_u32 v[6:7], s[8:9], v4, s2, v[2:3]
	v_ashrrev_i32_e32 v7, 31, v6
	v_lshlrev_b64 v[6:7], 2, v[6:7]
	v_add_co_u32_e32 v6, vcc, v1, v6
	v_addc_co_u32_e32 v7, vcc, v3, v7, vcc
	global_load_dword v5, v[6:7], off
	v_mad_u64_u32 v[6:7], s[8:9], v4, 36, v[2:3]
	v_lshl_add_u32 v6, v6, 2, 0
	s_waitcnt vmcnt(0)
	ds_write_b32 v6, v5
.LBB15_18:
	s_or_b64 exec, exec, s[0:1]
	s_load_dwordx4 s[8:11], s[4:5], 0x8
	s_load_dwordx2 s[0:1], s[4:5], 0x28
	s_movk_i32 s7, 0x380
	v_cmp_gt_u32_e32 vcc, s7, v0
	s_and_saveexec_b64 s[16:17], vcc
	s_cbranch_execz .LBB15_39
; %bb.19:
	v_or_b32_e32 v2, 0x80, v2
	v_mul_lo_u16_e32 v5, 57, v2
	v_lshrrev_b16_e32 v5, 11, v5
	v_add_u32_e32 v4, v4, v5
	v_mul_lo_u16_e32 v5, 36, v5
	s_movk_i32 s7, 0x80
	v_sub_u16_e32 v2, v2, v5
	v_and_b32_e32 v2, 0xff, v2
	v_cmp_gt_u32_e32 vcc, s7, v4
	s_and_saveexec_b64 s[18:19], vcc
	s_cbranch_execz .LBB15_21
; %bb.20:
	v_mad_u64_u32 v[6:7], s[20:21], v4, s2, v[2:3]
	v_ashrrev_i32_e32 v7, 31, v6
	v_lshlrev_b64 v[6:7], 2, v[6:7]
	v_add_co_u32_e32 v6, vcc, v1, v6
	v_addc_co_u32_e32 v7, vcc, v3, v7, vcc
	global_load_dword v5, v[6:7], off
	v_mad_u64_u32 v[6:7], s[20:21], v4, 36, v[2:3]
	v_lshl_add_u32 v6, v6, 2, 0
	s_waitcnt vmcnt(0)
	ds_write_b32 v6, v5
.LBB15_21:
	s_or_b64 exec, exec, s[18:19]
	s_movk_i32 s7, 0x300
	v_cmp_gt_u32_e32 vcc, s7, v0
	s_and_b64 exec, exec, vcc
	s_cbranch_execz .LBB15_39
; %bb.22:
	v_or_b32_e32 v2, 0x80, v2
	v_mul_lo_u16_e32 v5, 57, v2
	v_lshrrev_b16_e32 v5, 11, v5
	v_add_u32_e32 v4, v4, v5
	v_mul_lo_u16_e32 v5, 36, v5
	s_movk_i32 s7, 0x80
	v_sub_u16_e32 v2, v2, v5
	v_and_b32_e32 v2, 0xff, v2
	v_cmp_gt_u32_e32 vcc, s7, v4
	s_and_saveexec_b64 s[18:19], vcc
	s_cbranch_execz .LBB15_24
; %bb.23:
	v_mad_u64_u32 v[6:7], s[20:21], v4, s2, v[2:3]
	v_ashrrev_i32_e32 v7, 31, v6
	v_lshlrev_b64 v[6:7], 2, v[6:7]
	v_add_co_u32_e32 v6, vcc, v1, v6
	v_addc_co_u32_e32 v7, vcc, v3, v7, vcc
	global_load_dword v5, v[6:7], off
	v_mad_u64_u32 v[6:7], s[20:21], v4, 36, v[2:3]
	v_lshl_add_u32 v6, v6, 2, 0
	s_waitcnt vmcnt(0)
	ds_write_b32 v6, v5
.LBB15_24:
	s_or_b64 exec, exec, s[18:19]
	s_movk_i32 s7, 0x280
	v_cmp_gt_u32_e32 vcc, s7, v0
	s_and_b64 exec, exec, vcc
	s_cbranch_execz .LBB15_39
; %bb.25:
	v_or_b32_e32 v2, 0x80, v2
	v_mul_lo_u16_e32 v5, 57, v2
	v_lshrrev_b16_e32 v5, 11, v5
	v_add_u32_e32 v4, v4, v5
	v_mul_lo_u16_e32 v5, 36, v5
	s_movk_i32 s7, 0x80
	v_sub_u16_e32 v2, v2, v5
	v_and_b32_e32 v2, 0xff, v2
	v_cmp_gt_u32_e32 vcc, s7, v4
	s_and_saveexec_b64 s[18:19], vcc
	s_cbranch_execz .LBB15_27
; %bb.26:
	v_mad_u64_u32 v[6:7], s[20:21], v4, s2, v[2:3]
	v_ashrrev_i32_e32 v7, 31, v6
	v_lshlrev_b64 v[6:7], 2, v[6:7]
	v_add_co_u32_e32 v6, vcc, v1, v6
	v_addc_co_u32_e32 v7, vcc, v3, v7, vcc
	global_load_dword v5, v[6:7], off
	v_mad_u64_u32 v[6:7], s[20:21], v4, 36, v[2:3]
	v_lshl_add_u32 v6, v6, 2, 0
	s_waitcnt vmcnt(0)
	ds_write_b32 v6, v5
.LBB15_27:
	s_or_b64 exec, exec, s[18:19]
	s_movk_i32 s7, 0x200
	v_cmp_gt_u32_e32 vcc, s7, v0
	s_and_b64 exec, exec, vcc
	s_cbranch_execz .LBB15_39
; %bb.28:
	v_or_b32_e32 v2, 0x80, v2
	v_mul_lo_u16_e32 v5, 57, v2
	v_lshrrev_b16_e32 v5, 11, v5
	v_add_u32_e32 v4, v4, v5
	v_mul_lo_u16_e32 v5, 36, v5
	s_movk_i32 s7, 0x80
	v_sub_u16_e32 v2, v2, v5
	v_and_b32_e32 v2, 0xff, v2
	v_cmp_gt_u32_e32 vcc, s7, v4
	s_and_saveexec_b64 s[18:19], vcc
	s_cbranch_execz .LBB15_30
; %bb.29:
	v_mad_u64_u32 v[6:7], s[20:21], v4, s2, v[2:3]
	v_ashrrev_i32_e32 v7, 31, v6
	v_lshlrev_b64 v[6:7], 2, v[6:7]
	v_add_co_u32_e32 v6, vcc, v1, v6
	v_addc_co_u32_e32 v7, vcc, v3, v7, vcc
	global_load_dword v5, v[6:7], off
	v_mad_u64_u32 v[6:7], s[20:21], v4, 36, v[2:3]
	v_lshl_add_u32 v6, v6, 2, 0
	s_waitcnt vmcnt(0)
	ds_write_b32 v6, v5
.LBB15_30:
	s_or_b64 exec, exec, s[18:19]
	s_movk_i32 s7, 0x180
	v_cmp_gt_u32_e32 vcc, s7, v0
	s_and_b64 exec, exec, vcc
	s_cbranch_execz .LBB15_39
; %bb.31:
	v_or_b32_e32 v2, 0x80, v2
	v_mul_lo_u16_e32 v5, 57, v2
	v_lshrrev_b16_e32 v5, 11, v5
	v_add_u32_e32 v4, v4, v5
	v_mul_lo_u16_e32 v5, 36, v5
	s_movk_i32 s7, 0x80
	v_sub_u16_e32 v2, v2, v5
	v_and_b32_e32 v2, 0xff, v2
	v_cmp_gt_u32_e32 vcc, s7, v4
	s_and_saveexec_b64 s[18:19], vcc
	s_cbranch_execz .LBB15_33
; %bb.32:
	v_mad_u64_u32 v[6:7], s[20:21], v4, s2, v[2:3]
	v_ashrrev_i32_e32 v7, 31, v6
	v_lshlrev_b64 v[6:7], 2, v[6:7]
	v_add_co_u32_e32 v6, vcc, v1, v6
	v_addc_co_u32_e32 v7, vcc, v3, v7, vcc
	global_load_dword v5, v[6:7], off
	v_mad_u64_u32 v[6:7], s[20:21], v4, 36, v[2:3]
	v_lshl_add_u32 v6, v6, 2, 0
	s_waitcnt vmcnt(0)
	ds_write_b32 v6, v5
.LBB15_33:
	s_or_b64 exec, exec, s[18:19]
	s_movk_i32 s7, 0x100
	v_cmp_gt_u32_e32 vcc, s7, v0
	s_and_b64 exec, exec, vcc
	s_cbranch_execz .LBB15_39
; %bb.34:
	v_or_b32_e32 v2, 0x80, v2
	v_mul_lo_u16_e32 v5, 57, v2
	v_lshrrev_b16_e32 v5, 11, v5
	v_add_u32_e32 v4, v4, v5
	v_mul_lo_u16_e32 v5, 36, v5
	s_movk_i32 s7, 0x80
	v_sub_u16_e32 v2, v2, v5
	v_and_b32_e32 v2, 0xff, v2
	v_cmp_gt_u32_e32 vcc, s7, v4
	s_and_saveexec_b64 s[18:19], vcc
	s_cbranch_execz .LBB15_36
; %bb.35:
	v_mad_u64_u32 v[6:7], s[20:21], v4, s2, v[2:3]
	v_ashrrev_i32_e32 v7, 31, v6
	v_lshlrev_b64 v[6:7], 2, v[6:7]
	v_add_co_u32_e32 v6, vcc, v1, v6
	v_addc_co_u32_e32 v7, vcc, v3, v7, vcc
	global_load_dword v5, v[6:7], off
	v_mad_u64_u32 v[6:7], s[20:21], v4, 36, v[2:3]
	v_lshl_add_u32 v6, v6, 2, 0
	s_waitcnt vmcnt(0)
	ds_write_b32 v6, v5
.LBB15_36:
	s_or_b64 exec, exec, s[18:19]
	v_cmp_gt_u32_e32 vcc, s7, v0
	s_and_b64 exec, exec, vcc
	s_cbranch_execz .LBB15_39
; %bb.37:
	v_or_b32_e32 v5, 0x80, v2
	v_mul_lo_u16_e32 v2, 57, v5
	v_lshrrev_b16_e32 v6, 11, v2
	v_add_u32_e32 v2, v4, v6
	v_cmp_gt_u32_e32 vcc, s7, v2
	s_and_b64 exec, exec, vcc
	s_cbranch_execz .LBB15_39
; %bb.38:
	v_mul_lo_u16_e32 v4, 36, v6
	v_sub_u16_e32 v4, v5, v4
	v_and_b32_e32 v4, 0xff, v4
	v_mad_u64_u32 v[6:7], s[18:19], v2, s2, v[4:5]
	v_ashrrev_i32_e32 v7, 31, v6
	v_lshlrev_b64 v[6:7], 2, v[6:7]
	v_add_co_u32_e32 v6, vcc, v1, v6
	v_addc_co_u32_e32 v7, vcc, v3, v7, vcc
	global_load_dword v1, v[6:7], off
	v_mad_u64_u32 v[2:3], s[18:19], v2, 36, v[4:5]
	v_lshl_add_u32 v2, v2, 2, 0
	s_waitcnt vmcnt(0)
	ds_write_b32 v2, v1
.LBB15_39:
	s_or_b64 exec, exec, s[16:17]
	s_ashr_i32 s2, s3, 31
	s_mul_hi_u32 s7, s12, s3
	s_mul_i32 s2, s12, s2
	s_add_i32 s2, s7, s2
	s_mul_i32 s7, s13, s3
	s_add_i32 s2, s2, s7
	s_mul_i32 s7, s12, s3
	s_waitcnt lgkmcnt(0)
	s_add_u32 s7, s8, s7
	s_addc_u32 s2, s9, s2
	s_ashr_i32 s3, s3, 2
	v_mul_lo_u32 v2, s3, v0
	v_ashrrev_i32_e32 v3, 31, v2
	v_lshlrev_b64 v[2:3], 2, v[2:3]
	v_mov_b32_e32 v1, s2
	v_add_co_u32_e32 v8, vcc, s7, v2
	v_addc_co_u32_e32 v9, vcc, v1, v3, vcc
	s_barrier
	global_load_dword v7, v[8:9], off offset:16
	global_load_dwordx4 v[2:5], v[8:9], off
	s_cmp_eq_u64 s[10:11], 0
	v_lshlrev_b32_e32 v20, 2, v0
	s_cbranch_scc1 .LBB15_41
; %bb.40:
	s_lshl_b64 s[2:3], s[12:13], 2
	s_add_u32 s2, s10, s2
	s_addc_u32 s3, s11, s3
	global_load_dword v8, v20, s[2:3]
	s_branch .LBB15_42
.LBB15_41:
	v_mov_b32_e32 v8, 0
.LBB15_42:
	s_load_dwordx2 s[2:3], s[4:5], 0x40
	s_waitcnt lgkmcnt(0)
	s_sub_u32 s8, s2, s14
	s_subb_u32 s9, s3, s15
	v_cmp_lt_i64_e64 s[2:3], s[8:9], 1
	s_and_b64 vcc, exec, s[2:3]
	s_cbranch_vccnz .LBB15_50
; %bb.43:
	s_load_dwordx4 s[16:19], s[4:5], 0x30
	s_waitcnt vmcnt(0)
	v_mov_b32_e32 v10, v3
	v_mov_b32_e32 v11, v4
	;; [unrolled: 1-line block ×3, first 2 shown]
	s_mov_b32 s5, 0
	s_waitcnt lgkmcnt(0)
	s_ashr_i32 s2, s17, 31
	s_mul_hi_u32 s3, s14, s17
	s_mul_i32 s2, s14, s2
	s_add_i32 s2, s3, s2
	s_mul_i32 s3, s15, s17
	s_add_i32 s15, s2, s3
	s_ashr_i32 s2, s16, 31
	s_mul_hi_u32 s3, s12, s16
	s_mul_i32 s2, s12, s2
	s_mul_i32 s10, s6, s18
	s_add_i32 s2, s3, s2
	s_mul_i32 s3, s13, s16
	s_ashr_i32 s11, s10, 31
	s_add_i32 s13, s2, s3
	s_ashr_i32 s2, s17, 2
	v_cmp_lt_i64_e64 s[6:7], s[8:9], 32
	s_and_b64 s[6:7], s[6:7], exec
	s_cselect_b32 s7, s9, 0
	s_cselect_b32 s6, s8, 32
	s_mul_i32 s14, s14, s17
	s_mul_i32 s12, s12, s16
	v_cmp_gt_i64_e64 s[16:17], s[6:7], 1
	s_and_b64 s[16:17], s[16:17], exec
	s_cselect_b32 s7, s7, 0
	s_cselect_b32 s6, s6, 1
	s_cmp_eq_u64 s[8:9], 1
	s_cselect_b64 s[8:9], -1, 0
	s_cmp_lg_u32 s2, 1
	s_cselect_b64 s[16:17], -1, 0
	s_or_b64 s[8:9], s[8:9], s[16:17]
	v_mul_u32_u24_e32 v21, 36, v0
	s_and_b64 vcc, exec, s[8:9]
	s_cbranch_vccnz .LBB15_47
; %bb.44:
	s_add_u32 s3, s0, s10
	s_addc_u32 s4, s1, s11
	s_add_u32 s3, s3, s14
	v_lshl_add_u32 v22, v21, 2, 0
	s_addc_u32 s4, s4, s15
	ds_read2_b32 v[18:19], v22 offset1:1
	s_add_u32 s3, s3, s12
	s_addc_u32 s4, s4, s13
	v_mov_b32_e32 v1, s4
	v_add_co_u32_e32 v0, vcc, s3, v20
	s_and_b32 s4, s6, 62
	v_addc_co_u32_e32 v1, vcc, 0, v1, vcc
	v_mov_b32_e32 v3, v2
	v_mov_b32_e32 v4, v10
	;; [unrolled: 1-line block ×10, first 2 shown]
	s_mov_b64 s[8:9], s[4:5]
.LBB15_45:                              ; =>This Inner Loop Header: Depth=1
	s_waitcnt lgkmcnt(0)
	v_pk_fma_f32 v[24:25], v[2:3], v[18:19], 0 op_sel_hi:[1,1,0]
	ds_read2_b32 v[26:27], v22 offset0:1 offset1:2
	ds_read2_b32 v[18:19], v22 offset0:2 offset1:3
	;; [unrolled: 1-line block ×4, first 2 shown]
	s_add_u32 s8, s8, -2
	s_waitcnt lgkmcnt(3)
	v_pk_fma_f32 v[24:25], v[4:5], v[26:27], v[24:25]
	s_waitcnt lgkmcnt(2)
	v_pk_fma_f32 v[24:25], v[12:13], v[18:19], v[24:25]
	;; [unrolled: 2-line block ×4, first 2 shown]
	v_pk_add_f32 v[24:25], v[8:9], v[24:25]
	v_add_u32_e32 v23, 8, v22
	s_addc_u32 s9, s9, -1
	global_store_dwordx2 v[0:1], v[24:25], off
	v_add_co_u32_e32 v0, vcc, 8, v0
	v_mov_b32_e32 v22, v23
	s_cmp_lg_u64 s[8:9], 0
	v_addc_co_u32_e32 v1, vcc, 0, v1, vcc
	s_cbranch_scc1 .LBB15_45
; %bb.46:
	s_cmp_lg_u64 s[6:7], s[4:5]
	s_cselect_b64 s[8:9], -1, 0
	s_and_b64 vcc, exec, s[8:9]
	s_cbranch_vccnz .LBB15_48
	s_branch .LBB15_50
.LBB15_47:
	s_mov_b64 s[4:5], 0
	s_cbranch_execz .LBB15_50
.LBB15_48:
	s_ashr_i32 s3, s2, 31
	s_sub_u32 s6, s4, s6
	s_subb_u32 s7, s5, s7
	s_add_u32 s5, s12, s14
	s_mul_hi_i32 s9, s4, s2
	s_mul_i32 s8, s4, s2
	s_addc_u32 s12, s13, s15
	s_lshl_b64 s[8:9], s[8:9], 2
	s_add_u32 s5, s5, s8
	s_addc_u32 s8, s12, s9
	v_add_u32_e32 v0, s4, v21
	s_add_u32 s0, s0, s10
	v_lshl_add_u32 v9, v0, 2, 0
	s_addc_u32 s1, s1, s11
	ds_read_b32 v4, v9
	s_add_u32 s0, s0, s5
	s_addc_u32 s1, s1, s8
	v_mov_b32_e32 v1, s1
	v_add_co_u32_e32 v0, vcc, s0, v20
	s_lshl_b64 s[2:3], s[2:3], 2
	v_addc_co_u32_e32 v1, vcc, 0, v1, vcc
	v_mov_b32_e32 v3, s3
.LBB15_49:                              ; =>This Inner Loop Header: Depth=1
	s_waitcnt lgkmcnt(0)
	v_fma_f32 v16, v2, v4, 0
	ds_read2_b32 v[4:5], v9 offset0:1 offset1:2
	ds_read2_b32 v[12:13], v9 offset0:3 offset1:4
	v_add_u32_e32 v14, 4, v9
	v_mov_b32_e32 v9, v14
	s_add_u32 s6, s6, 1
	s_waitcnt lgkmcnt(1)
	v_pk_mul_f32 v[14:15], v[10:11], v[4:5]
	v_add_f32_e32 v5, v16, v14
	s_waitcnt lgkmcnt(0)
	v_pk_mul_f32 v[12:13], v[6:7], v[12:13]
	v_add_f32_e32 v5, v5, v15
	s_addc_u32 s7, s7, 0
	v_add_f32_e32 v5, v5, v12
	s_cmp_eq_u64 s[6:7], 0
	v_add_f32_e32 v5, v5, v13
	s_cselect_b64 s[0:1], -1, 0
	v_add_f32_e32 v5, v8, v5
	s_andn2_b64 vcc, exec, s[0:1]
	global_store_dword v[0:1], v5, off
	v_add_co_u32_e64 v0, s[0:1], s2, v0
	v_addc_co_u32_e64 v1, s[0:1], v1, v3, s[0:1]
	s_cbranch_vccnz .LBB15_49
.LBB15_50:
	s_endpgm
	.section	.rodata,"a",@progbits
	.p2align	6, 0x0
	.amdhsa_kernel _ZL23ssm_conv_long_token_f32ILb0ELm128ELm5ELl32EEvPKfS1_S1_iiiiPfiiil
		.amdhsa_group_segment_fixed_size 0
		.amdhsa_private_segment_fixed_size 0
		.amdhsa_kernarg_size 72
		.amdhsa_user_sgpr_count 6
		.amdhsa_user_sgpr_private_segment_buffer 1
		.amdhsa_user_sgpr_dispatch_ptr 0
		.amdhsa_user_sgpr_queue_ptr 0
		.amdhsa_user_sgpr_kernarg_segment_ptr 1
		.amdhsa_user_sgpr_dispatch_id 0
		.amdhsa_user_sgpr_flat_scratch_init 0
		.amdhsa_user_sgpr_kernarg_preload_length 0
		.amdhsa_user_sgpr_kernarg_preload_offset 0
		.amdhsa_user_sgpr_private_segment_size 0
		.amdhsa_uses_dynamic_stack 0
		.amdhsa_system_sgpr_private_segment_wavefront_offset 0
		.amdhsa_system_sgpr_workgroup_id_x 1
		.amdhsa_system_sgpr_workgroup_id_y 1
		.amdhsa_system_sgpr_workgroup_id_z 1
		.amdhsa_system_sgpr_workgroup_info 0
		.amdhsa_system_vgpr_workitem_id 0
		.amdhsa_next_free_vgpr 64
		.amdhsa_next_free_sgpr 22
		.amdhsa_accum_offset 64
		.amdhsa_reserve_vcc 1
		.amdhsa_reserve_flat_scratch 0
		.amdhsa_float_round_mode_32 0
		.amdhsa_float_round_mode_16_64 0
		.amdhsa_float_denorm_mode_32 3
		.amdhsa_float_denorm_mode_16_64 3
		.amdhsa_dx10_clamp 1
		.amdhsa_ieee_mode 1
		.amdhsa_fp16_overflow 0
		.amdhsa_tg_split 0
		.amdhsa_exception_fp_ieee_invalid_op 0
		.amdhsa_exception_fp_denorm_src 0
		.amdhsa_exception_fp_ieee_div_zero 0
		.amdhsa_exception_fp_ieee_overflow 0
		.amdhsa_exception_fp_ieee_underflow 0
		.amdhsa_exception_fp_ieee_inexact 0
		.amdhsa_exception_int_div_zero 0
	.end_amdhsa_kernel
	.section	.text._ZL23ssm_conv_long_token_f32ILb0ELm128ELm5ELl32EEvPKfS1_S1_iiiiPfiiil,"axG",@progbits,_ZL23ssm_conv_long_token_f32ILb0ELm128ELm5ELl32EEvPKfS1_S1_iiiiPfiiil,comdat
.Lfunc_end15:
	.size	_ZL23ssm_conv_long_token_f32ILb0ELm128ELm5ELl32EEvPKfS1_S1_iiiiPfiiil, .Lfunc_end15-_ZL23ssm_conv_long_token_f32ILb0ELm128ELm5ELl32EEvPKfS1_S1_iiiiPfiiil
                                        ; -- End function
	.section	.AMDGPU.csdata,"",@progbits
; Kernel info:
; codeLenInByte = 5008
; NumSgprs: 26
; NumVgprs: 64
; NumAgprs: 0
; TotalNumVgprs: 64
; ScratchSize: 0
; MemoryBound: 0
; FloatMode: 240
; IeeeMode: 1
; LDSByteSize: 0 bytes/workgroup (compile time only)
; SGPRBlocks: 3
; VGPRBlocks: 7
; NumSGPRsForWavesPerEU: 26
; NumVGPRsForWavesPerEU: 64
; AccumOffset: 64
; Occupancy: 8
; WaveLimiterHint : 0
; COMPUTE_PGM_RSRC2:SCRATCH_EN: 0
; COMPUTE_PGM_RSRC2:USER_SGPR: 6
; COMPUTE_PGM_RSRC2:TRAP_HANDLER: 0
; COMPUTE_PGM_RSRC2:TGID_X_EN: 1
; COMPUTE_PGM_RSRC2:TGID_Y_EN: 1
; COMPUTE_PGM_RSRC2:TGID_Z_EN: 1
; COMPUTE_PGM_RSRC2:TIDIG_COMP_CNT: 0
; COMPUTE_PGM_RSRC3_GFX90A:ACCUM_OFFSET: 15
; COMPUTE_PGM_RSRC3_GFX90A:TG_SPLIT: 0
	.section	.text._ZL12ssm_conv_f32ILb0ELm128ELm9EEvPKfS1_S1_iiiiPfiiil,"axG",@progbits,_ZL12ssm_conv_f32ILb0ELm128ELm9EEvPKfS1_S1_iiiiPfiiil,comdat
	.globl	_ZL12ssm_conv_f32ILb0ELm128ELm9EEvPKfS1_S1_iiiiPfiiil ; -- Begin function _ZL12ssm_conv_f32ILb0ELm128ELm9EEvPKfS1_S1_iiiiPfiiil
	.p2align	8
	.type	_ZL12ssm_conv_f32ILb0ELm128ELm9EEvPKfS1_S1_iiiiPfiiil,@function
_ZL12ssm_conv_f32ILb0ELm128ELm9EEvPKfS1_S1_iiiiPfiiil: ; @_ZL12ssm_conv_f32ILb0ELm128ELm9EEvPKfS1_S1_iiiiPfiiil
; %bb.0:
	s_load_dwordx2 s[0:1], s[4:5], 0x10
	s_mov_b32 s8, s7
	s_ashr_i32 s9, s7, 31
	s_lshl_b64 s[18:19], s[8:9], 7
	v_lshlrev_b32_e32 v20, 2, v0
	s_waitcnt lgkmcnt(0)
	s_cmp_eq_u64 s[0:1], 0
	s_cbranch_scc1 .LBB16_2
; %bb.1:
	s_lshl_b64 s[2:3], s[18:19], 2
	s_add_u32 s0, s0, s2
	s_addc_u32 s1, s1, s3
	global_load_dword v9, v20, s[0:1]
	s_load_dwordx2 s[16:17], s[4:5], 0x40
	s_waitcnt lgkmcnt(0)
	v_cmp_lt_i64_e64 s[0:1], s[16:17], 1
	s_and_b64 vcc, exec, s[0:1]
	s_cbranch_vccz .LBB16_3
	s_branch .LBB16_6
.LBB16_2:
	v_mov_b32_e32 v9, 0
	s_load_dwordx2 s[16:17], s[4:5], 0x40
	s_waitcnt lgkmcnt(0)
	v_cmp_lt_i64_e64 s[0:1], s[16:17], 1
	s_and_b64 vcc, exec, s[0:1]
	s_cbranch_vccnz .LBB16_6
.LBB16_3:
	s_load_dwordx4 s[12:15], s[4:5], 0x1c
	s_load_dwordx4 s[0:3], s[4:5], 0x0
	v_mov_b32_e32 v1, s8
	v_alignbit_b32 v1, s9, v1, 25
	s_waitcnt lgkmcnt(0)
	s_ashr_i32 s7, s14, 31
	s_mul_hi_u32 s8, s18, s14
	s_mul_i32 s7, s18, s7
	v_mul_lo_u32 v1, v1, s14
	s_add_i32 s8, s8, s7
	s_mul_i32 s7, s18, s14
	v_add_u32_e32 v1, s8, v1
	s_ashr_i32 s8, s14, 2
	v_mul_lo_u32 v2, s8, v0
	v_mov_b32_e32 v4, s7
	v_mov_b32_e32 v5, s3
	v_ashrrev_i32_e32 v3, 31, v2
	v_add_co_u32_e32 v4, vcc, s2, v4
	v_addc_co_u32_e32 v1, vcc, v5, v1, vcc
	v_lshlrev_b64 v[2:3], 2, v[2:3]
	v_add_co_u32_e32 v24, vcc, v4, v2
	v_addc_co_u32_e32 v25, vcc, v1, v3, vcc
	global_load_dwordx4 v[10:13], v[24:25], off
	s_load_dwordx2 s[14:15], s[4:5], 0x28
	s_load_dwordx4 s[8:11], s[4:5], 0x30
	s_ashr_i32 s4, s12, 31
	s_mul_hi_u32 s5, s18, s12
	s_mul_i32 s4, s18, s4
	s_add_i32 s4, s5, s4
	s_mul_i32 s5, s19, s12
	s_mul_i32 s2, s6, s13
	s_add_i32 s7, s4, s5
	s_waitcnt lgkmcnt(0)
	s_mul_i32 s4, s6, s10
	s_ashr_i32 s3, s2, 31
	s_ashr_i32 s5, s4, 31
	s_add_u32 s10, s14, s4
	s_addc_u32 s13, s15, s5
	s_ashr_i32 s6, s8, 31
	s_mul_hi_u32 s20, s18, s8
	s_mul_i32 s6, s18, s6
	s_add_i32 s6, s20, s6
	s_mul_i32 s19, s19, s8
	s_add_i32 s6, s6, s19
	s_mul_i32 s8, s18, s8
	s_mul_i32 s11, s18, s12
	s_add_u32 s18, s10, s8
	s_addc_u32 s19, s13, s6
	s_add_u32 s10, s0, s2
	s_addc_u32 s13, s1, s3
	;; [unrolled: 2-line block ×3, first 2 shown]
	s_ashr_i32 s12, s12, 2
	v_mul_lo_u32 v0, s12, v0
	v_ashrrev_i32_e32 v1, 31, v0
	v_lshlrev_b64 v[18:19], 2, v[0:1]
	v_mov_b32_e32 v0, s13
	v_add_co_u32_e32 v26, vcc, s10, v18
	v_addc_co_u32_e32 v27, vcc, v0, v19, vcc
	global_load_dwordx4 v[0:3], v[26:27], off
	global_load_dwordx4 v[14:17], v[24:25], off offset:16
	global_load_dwordx4 v[4:7], v[26:27], off offset:16
	global_load_dword v22, v[24:25], off offset:32
	global_load_dword v8, v[26:27], off offset:32
	s_cmp_eq_u64 s[16:17], 1
	s_waitcnt vmcnt(4)
	v_fma_f32 v21, v10, v0, 0
	v_fmac_f32_e32 v21, v11, v1
	v_fmac_f32_e32 v21, v12, v2
	;; [unrolled: 1-line block ×3, first 2 shown]
	s_waitcnt vmcnt(2)
	v_fmac_f32_e32 v21, v14, v4
	v_fmac_f32_e32 v21, v15, v5
	;; [unrolled: 1-line block ×4, first 2 shown]
	s_waitcnt vmcnt(0)
	v_fmac_f32_e32 v21, v22, v8
	v_add_f32_e32 v21, v9, v21
	global_store_dword v20, v21, s[18:19]
	s_cbranch_scc1 .LBB16_6
; %bb.4:
	s_ashr_i32 s12, s9, 2
	s_ashr_i32 s13, s12, 31
	s_add_u32 s0, s0, s2
	s_addc_u32 s1, s1, s3
	s_add_u32 s0, s0, s11
	s_addc_u32 s1, s1, s7
	v_add_co_u32_e32 v18, vcc, s0, v18
	s_add_u32 s0, s16, -1
	v_mov_b32_e32 v21, s1
	s_addc_u32 s1, s17, -1
	s_lshl_b64 s[2:3], s[12:13], 2
	s_add_u32 s7, s8, s2
	s_addc_u32 s6, s6, s3
	s_add_u32 s4, s14, s4
	v_addc_co_u32_e32 v19, vcc, v21, v19, vcc
	s_addc_u32 s5, s15, s5
	v_add_co_u32_e32 v18, vcc, 36, v18
	s_add_u32 s4, s4, s7
	v_addc_co_u32_e32 v19, vcc, 0, v19, vcc
	s_addc_u32 s5, s5, s6
	v_mov_b32_e32 v21, s5
	v_add_co_u32_e32 v20, vcc, s4, v20
	v_addc_co_u32_e32 v21, vcc, 0, v21, vcc
	s_mov_b64 s[4:5], 1
	s_mov_b64 s[6:7], 0
	;; [unrolled: 1-line block ×10, first 2 shown]
	v_mov_b32_e32 v23, s3
.LBB16_5:                               ; =>This Inner Loop Header: Depth=1
	s_add_u32 s3, 0, 0x71c4fc00
	s_addc_u32 s24, 0, 0x7c
	s_mul_hi_u32 s26, s3, -9
	s_add_i32 s24, s24, 0x1c71c6a0
	s_sub_i32 s26, s26, s3
	s_mul_i32 s29, s24, -9
	s_mul_i32 s25, s3, -9
	s_add_i32 s26, s26, s29
	s_mul_hi_u32 s27, s3, s25
	s_mul_i32 s30, s3, s26
	s_mul_hi_u32 s29, s3, s26
	s_add_u32 s27, s27, s30
	s_mul_hi_u32 s28, s24, s25
	s_mul_i32 s25, s24, s25
	s_addc_u32 s29, 0, s29
	s_add_u32 s25, s27, s25
	s_mul_hi_u32 s31, s24, s26
	s_addc_u32 s25, s29, s28
	s_mul_i32 s26, s24, s26
	s_addc_u32 s27, s31, 0
	global_load_dword v24, v[18:19], off
	v_add_co_u32_e32 v18, vcc, 4, v18
	s_add_u32 s25, s25, s26
	v_addc_co_u32_e32 v19, vcc, 0, v19, vcc
	v_mov_b32_e32 v25, s25
	s_addc_u32 s26, 0, s27
	v_add_co_u32_e32 v25, vcc, s3, v25
	s_cmp_lg_u64 vcc, 0
	v_readfirstlane_b32 s35, v25
	s_addc_u32 s37, s24, s26
	s_mul_hi_u32 s38, s4, s35
	s_mul_i32 s49, s4, s37
	s_mul_hi_u32 s43, s5, s35
	s_mul_i32 s44, s5, s35
	s_mul_hi_u32 s45, s8, s35
	s_mul_hi_u32 s46, s9, s35
	s_mul_i32 s47, s9, s35
	s_mul_hi_u32 s48, s10, s35
	;; [unrolled: 3-line block ×10, first 2 shown]
	s_add_u32 s38, s38, s49
	s_addc_u32 s35, 0, s35
	s_add_u32 s38, s38, s44
	s_mul_hi_u32 s54, s5, s37
	s_addc_u32 s35, s35, s43
	s_mul_i32 s56, s5, s37
	s_addc_u32 s38, s54, 0
	s_add_u32 s35, s35, s56
	s_addc_u32 s38, 0, s38
	s_mul_i32 s44, s35, 9
	s_mul_hi_u32 s43, s35, 9
	s_mul_i32 s38, s38, 9
	v_mov_b32_e32 v25, s44
	s_add_i32 s43, s43, s38
	v_sub_co_u32_e32 v25, vcc, s4, v25
	s_cmp_lg_u64 vcc, 0
	v_subrev_co_u32_e32 v26, vcc, 9, v25
	s_subb_u32 s38, s5, s43
	s_cmp_lg_u64 vcc, 0
	v_readfirstlane_b32 s43, v26
	s_subb_u32 s44, s38, 0
	s_cmp_gt_u32 s43, 8
	s_cselect_b32 s43, -1, 0
	s_cmp_eq_u32 s44, 0
	s_cselect_b32 s43, s43, -1
	s_add_i32 s44, s35, 1
	s_add_i32 s49, s35, 2
	s_cmp_lg_u32 s43, 0
	s_cselect_b32 s43, s49, s44
	v_readfirstlane_b32 s44, v25
	s_cmp_gt_u32 s44, 8
	s_cselect_b32 s44, -1, 0
	s_cmp_eq_u32 s38, 0
	s_cselect_b32 s38, s44, -1
	s_mul_i32 s61, s8, s37
	s_cmp_lg_u32 s38, 0
	s_mul_hi_u32 s60, s8, s37
	s_cselect_b32 s38, s43, s35
	s_add_u32 s35, s45, s61
	s_addc_u32 s44, 0, s60
	s_add_u32 s35, s35, s47
	s_mul_hi_u32 s62, s9, s37
	s_addc_u32 s35, s44, s46
	s_mul_i32 s63, s9, s37
	s_addc_u32 s44, s62, 0
	s_add_u32 s35, s35, s63
	s_addc_u32 s44, 0, s44
	s_mul_i32 s46, s35, 9
	s_mul_hi_u32 s45, s35, 9
	s_mul_i32 s44, s44, 9
	v_mov_b32_e32 v25, s46
	s_add_i32 s45, s45, s44
	v_sub_co_u32_e32 v25, vcc, s8, v25
	s_cmp_lg_u64 vcc, 0
	v_subrev_co_u32_e32 v26, vcc, 9, v25
	s_subb_u32 s44, s9, s45
	s_cmp_lg_u64 vcc, 0
	v_readfirstlane_b32 s45, v26
	s_subb_u32 s46, s44, 0
	s_cmp_gt_u32 s45, 8
	s_cselect_b32 s45, -1, 0
	s_cmp_eq_u32 s46, 0
	s_cselect_b32 s45, s45, -1
	s_add_i32 s46, s35, 1
	s_add_i32 s47, s35, 2
	s_cmp_lg_u32 s45, 0
	s_cselect_b32 s45, s47, s46
	v_readfirstlane_b32 s46, v25
	s_cmp_gt_u32 s46, 8
	s_cselect_b32 s46, -1, 0
	s_cmp_eq_u32 s44, 0
	s_cselect_b32 s44, s46, -1
	s_mul_i32 s65, s10, s37
	s_cmp_lg_u32 s44, 0
	s_mul_hi_u32 s64, s10, s37
	s_cselect_b32 s35, s45, s35
	;; [unrolled: 38-line block ×3, first 2 shown]
	s_add_u32 s57, s57, s69
	s_mul_hi_u32 s70, s13, s37
	s_mul_i32 s71, s13, s37
	s_mul_hi_u32 s72, s14, s37
	s_mul_i32 s73, s14, s37
	;; [unrolled: 2-line block ×13, first 2 shown]
	s_mul_i32 s37, s63, 9
	s_addc_u32 s63, 0, s68
	s_add_u32 s57, s57, s59
	s_addc_u32 s57, s63, s58
	s_addc_u32 s58, s70, 0
	s_add_u32 s57, s57, s71
	s_addc_u32 s58, 0, s58
	s_mul_i32 s63, s57, 9
	s_mul_hi_u32 s59, s57, 9
	s_mul_i32 s58, s58, 9
	v_mov_b32_e32 v25, s63
	s_add_i32 s59, s59, s58
	v_sub_co_u32_e32 v25, vcc, s12, v25
	s_cmp_lg_u64 vcc, 0
	v_subrev_co_u32_e32 v26, vcc, 9, v25
	s_subb_u32 s59, s13, s59
	s_cmp_lg_u64 vcc, 0
	v_readfirstlane_b32 s63, v26
	s_subb_u32 s64, s59, 0
	s_cmp_gt_u32 s63, 8
	s_cselect_b32 s63, -1, 0
	s_cmp_eq_u32 s64, 0
	s_cselect_b32 s63, s63, -1
	s_add_i32 s64, s57, 1
	s_add_i32 s65, s57, 2
	v_readfirstlane_b32 s58, v25
	s_cmp_lg_u32 s63, 0
	s_cselect_b32 s63, s65, s64
	s_cmp_gt_u32 s58, 8
	s_cselect_b32 s58, -1, 0
	s_cmp_eq_u32 s59, 0
	s_cselect_b32 s58, s58, -1
	s_cmp_lg_u32 s58, 0
	s_cselect_b32 s57, s63, s57
	s_add_u32 s58, s42, s73
	s_mul_i32 s42, s57, 9
	s_addc_u32 s57, 0, s72
	s_add_u32 s52, s58, s52
	s_addc_u32 s51, s57, s51
	s_addc_u32 s52, s74, 0
	s_add_u32 s51, s51, s75
	s_addc_u32 s52, 0, s52
	s_mul_i32 s58, s51, 9
	s_mul_hi_u32 s57, s51, 9
	s_mul_i32 s52, s52, 9
	v_mov_b32_e32 v25, s58
	s_add_i32 s57, s57, s52
	v_sub_co_u32_e32 v25, vcc, s14, v25
	s_cmp_lg_u64 vcc, 0
	v_subrev_co_u32_e32 v26, vcc, 9, v25
	s_subb_u32 s57, s15, s57
	s_cmp_lg_u64 vcc, 0
	v_readfirstlane_b32 s58, v26
	s_subb_u32 s59, s57, 0
	s_cmp_gt_u32 s58, 8
	s_cselect_b32 s58, -1, 0
	s_cmp_eq_u32 s59, 0
	s_cselect_b32 s58, s58, -1
	s_add_i32 s59, s51, 1
	s_add_i32 s63, s51, 2
	v_readfirstlane_b32 s52, v25
	s_cmp_lg_u32 s58, 0
	s_cselect_b32 s58, s63, s59
	s_cmp_gt_u32 s52, 8
	s_cselect_b32 s52, -1, 0
	s_cmp_eq_u32 s57, 0
	s_cselect_b32 s52, s52, -1
	s_cmp_lg_u32 s52, 0
	s_cselect_b32 s51, s58, s51
	s_add_u32 s41, s41, s76
	s_addc_u32 s52, 0, s53
	s_add_u32 s40, s41, s40
	s_addc_u32 s39, s52, s39
	s_addc_u32 s40, s77, 0
	s_add_u32 s39, s39, s78
	s_addc_u32 s40, 0, s40
	s_mul_i32 s52, s39, 9
	s_mul_hi_u32 s41, s39, 9
	s_mul_i32 s40, s40, 9
	v_mov_b32_e32 v25, s52
	s_add_i32 s41, s41, s40
	v_sub_co_u32_e32 v25, vcc, s16, v25
	s_cmp_lg_u64 vcc, 0
	v_subrev_co_u32_e32 v26, vcc, 9, v25
	s_subb_u32 s41, s17, s41
	s_cmp_lg_u64 vcc, 0
	v_readfirstlane_b32 s52, v26
	s_subb_u32 s53, s41, 0
	s_cmp_gt_u32 s52, 8
	s_cselect_b32 s52, -1, 0
	s_cmp_eq_u32 s53, 0
	s_cselect_b32 s52, s52, -1
	s_add_i32 s53, s39, 1
	s_add_i32 s57, s39, 2
	v_readfirstlane_b32 s40, v25
	s_cmp_lg_u32 s52, 0
	s_cselect_b32 s52, s57, s53
	s_cmp_gt_u32 s40, 8
	s_cselect_b32 s40, -1, 0
	s_cmp_eq_u32 s41, 0
	s_cselect_b32 s40, s40, -1
	s_cmp_lg_u32 s40, 0
	s_cselect_b32 s39, s52, s39
	s_add_u32 s36, s36, s79
	s_addc_u32 s40, 0, s54
	s_add_u32 s34, s36, s34
	s_addc_u32 s33, s40, s33
	s_addc_u32 s34, s80, 0
	s_add_u32 s33, s33, s61
	s_addc_u32 s34, 0, s34
	s_mul_i32 s40, s33, 9
	s_mul_hi_u32 s36, s33, 9
	s_mul_i32 s34, s34, 9
	v_mov_b32_e32 v25, s40
	s_add_i32 s36, s36, s34
	v_sub_co_u32_e32 v25, vcc, s18, v25
	s_cmp_lg_u64 vcc, 0
	v_subrev_co_u32_e32 v26, vcc, 9, v25
	s_subb_u32 s36, s19, s36
	s_cmp_lg_u64 vcc, 0
	v_readfirstlane_b32 s40, v26
	s_subb_u32 s41, s36, 0
	s_cmp_gt_u32 s40, 8
	s_cselect_b32 s40, -1, 0
	s_cmp_eq_u32 s41, 0
	s_cselect_b32 s40, s40, -1
	s_add_i32 s41, s33, 1
	s_add_i32 s52, s33, 2
	v_readfirstlane_b32 s34, v25
	s_cmp_lg_u32 s40, 0
	s_cselect_b32 s40, s52, s41
	s_cmp_gt_u32 s34, 8
	s_cselect_b32 s34, -1, 0
	s_cmp_eq_u32 s36, 0
	s_cselect_b32 s34, s34, -1
	s_cmp_lg_u32 s34, 0
	s_cselect_b32 s33, s40, s33
	s_add_u32 s31, s31, s56
	s_addc_u32 s34, 0, s43
	s_add_u32 s30, s31, s30
	s_addc_u32 s29, s34, s29
	s_addc_u32 s30, s60, 0
	s_add_u32 s29, s29, s62
	s_addc_u32 s30, 0, s30
	s_mul_i32 s34, s29, 9
	s_mul_hi_u32 s31, s29, 9
	s_mul_i32 s30, s30, 9
	v_mov_b32_e32 v25, s34
	s_add_i32 s31, s31, s30
	v_sub_co_u32_e32 v25, vcc, s20, v25
	s_cmp_lg_u64 vcc, 0
	v_subrev_co_u32_e32 v26, vcc, 9, v25
	s_subb_u32 s31, s21, s31
	s_cmp_lg_u64 vcc, 0
	v_readfirstlane_b32 s34, v26
	s_subb_u32 s36, s31, 0
	s_cmp_gt_u32 s34, 8
	s_cselect_b32 s34, -1, 0
	s_cmp_eq_u32 s36, 0
	s_cselect_b32 s34, s34, -1
	s_add_i32 s36, s29, 1
	s_add_i32 s40, s29, 2
	v_readfirstlane_b32 s30, v25
	s_cmp_lg_u32 s34, 0
	s_cselect_b32 s34, s40, s36
	s_cmp_gt_u32 s30, 8
	s_cselect_b32 s30, -1, 0
	s_cmp_eq_u32 s31, 0
	s_cselect_b32 s30, s30, -1
	s_cmp_lg_u32 s30, 0
	s_cselect_b32 s29, s34, s29
	s_add_u32 s28, s28, s49
	s_addc_u32 s30, 0, s44
	s_add_u32 s27, s28, s27
	s_addc_u32 s26, s30, s26
	s_addc_u32 s27, s46, 0
	s_add_u32 s26, s26, s55
	s_addc_u32 s27, 0, s27
	s_mul_i32 s30, s26, 9
	s_mul_hi_u32 s28, s26, 9
	s_mul_i32 s27, s27, 9
	v_mov_b32_e32 v25, s30
	s_add_i32 s28, s28, s27
	v_sub_co_u32_e32 v25, vcc, s22, v25
	s_cmp_lg_u64 vcc, 0
	v_subrev_co_u32_e32 v26, vcc, 9, v25
	s_subb_u32 s28, s23, s28
	s_cmp_lg_u64 vcc, 0
	v_readfirstlane_b32 s30, v26
	s_subb_u32 s31, s28, 0
	s_cmp_gt_u32 s30, 8
	s_cselect_b32 s30, -1, 0
	s_cmp_eq_u32 s31, 0
	s_cselect_b32 s30, s30, -1
	s_add_i32 s31, s26, 1
	s_add_i32 s34, s26, 2
	v_readfirstlane_b32 s27, v25
	s_cmp_lg_u32 s30, 0
	s_cselect_b32 s30, s34, s31
	s_cmp_gt_u32 s27, 8
	s_cselect_b32 s27, -1, 0
	s_cmp_eq_u32 s28, 0
	s_cselect_b32 s27, s27, -1
	s_cmp_lg_u32 s27, 0
	s_cselect_b32 s26, s30, s26
	s_add_u32 s25, s25, s50
	s_addc_u32 s27, 0, s45
	s_add_u32 s24, s25, s24
	s_addc_u32 s3, s27, s3
	s_addc_u32 s24, s47, 0
	s_add_u32 s3, s3, s48
	s_addc_u32 s24, 0, s24
	s_mul_i32 s27, s3, 9
	s_mul_hi_u32 s25, s3, 9
	s_mul_i32 s24, s24, 9
	v_mov_b32_e32 v25, s27
	s_add_i32 s25, s25, s24
	v_sub_co_u32_e32 v25, vcc, s6, v25
	s_cmp_lg_u64 vcc, 0
	v_subrev_co_u32_e32 v26, vcc, 9, v25
	s_subb_u32 s25, s7, s25
	s_cmp_lg_u64 vcc, 0
	v_readfirstlane_b32 s27, v26
	s_subb_u32 s28, s25, 0
	s_cmp_gt_u32 s27, 8
	s_cselect_b32 s27, -1, 0
	s_cmp_eq_u32 s28, 0
	s_cselect_b32 s27, s27, -1
	s_add_i32 s28, s3, 1
	s_add_i32 s30, s3, 2
	v_readfirstlane_b32 s24, v25
	s_cmp_lg_u32 s27, 0
	s_cselect_b32 s27, s30, s28
	s_cmp_gt_u32 s24, 8
	s_cselect_b32 s24, -1, 0
	s_cmp_eq_u32 s25, 0
	s_cselect_b32 s24, s24, -1
	s_cmp_lg_u32 s24, 0
	s_mul_i32 s38, s38, 9
	s_cselect_b32 s3, s27, s3
	s_sub_i32 s24, s6, s38
	s_mul_i32 s3, s3, -9
	s_add_i32 s24, s24, 1
	s_add_i32 s3, s6, s3
	s_mul_i32 s35, s35, 9
	s_mul_i32 s51, s51, 9
	;; [unrolled: 1-line block ×6, first 2 shown]
	s_waitcnt vmcnt(0)
	s_set_gpr_idx_on s3, gpr_idx(DST)
	v_mov_b32_e32 v0, v24
	s_set_gpr_idx_off
	s_add_u32 s4, s4, 1
	s_set_gpr_idx_on s24, gpr_idx(SRC0)
	v_mov_b32_e32 v24, v0
	s_set_gpr_idx_off
	s_addc_u32 s5, s5, 0
	s_sub_i32 s3, s6, s26
	s_sub_i32 s24, s6, s29
	;; [unrolled: 1-line block ×8, first 2 shown]
	s_add_i32 s3, s3, 2
	s_add_i32 s24, s24, 3
	;; [unrolled: 1-line block ×8, first 2 shown]
	s_add_u32 s6, s6, 1
	s_addc_u32 s7, s7, 0
	s_add_u32 s8, s8, 1
	s_addc_u32 s9, s9, 0
	;; [unrolled: 2-line block ×3, first 2 shown]
	s_add_u32 s12, s12, 1
	v_fma_f32 v24, v10, v24, 0
	s_set_gpr_idx_on s3, gpr_idx(SRC0)
	v_mov_b32_e32 v25, v0
	s_set_gpr_idx_off
	s_addc_u32 s13, s13, 0
	v_fmac_f32_e32 v24, v11, v25
	s_set_gpr_idx_on s24, gpr_idx(SRC0)
	v_mov_b32_e32 v25, v0
	s_set_gpr_idx_off
	s_add_u32 s14, s14, 1
	v_fmac_f32_e32 v24, v12, v25
	s_set_gpr_idx_on s25, gpr_idx(SRC0)
	v_mov_b32_e32 v25, v0
	s_set_gpr_idx_off
	s_addc_u32 s15, s15, 0
	v_fmac_f32_e32 v24, v13, v25
	s_set_gpr_idx_on s26, gpr_idx(SRC0)
	v_mov_b32_e32 v25, v0
	s_set_gpr_idx_off
	s_add_u32 s16, s16, 1
	v_fmac_f32_e32 v24, v14, v25
	;; [unrolled: 10-line block ×4, first 2 shown]
	s_addc_u32 s21, s21, 0
	v_add_f32_e32 v24, v9, v24
	s_add_u32 s22, s22, 1
	global_store_dword v[20:21], v24, off
	v_add_co_u32_e32 v20, vcc, s2, v20
	s_addc_u32 s23, s23, 0
	s_cmp_eq_u64 s[0:1], s[6:7]
	v_addc_co_u32_e32 v21, vcc, v21, v23, vcc
	s_cbranch_scc0 .LBB16_5
.LBB16_6:
	s_endpgm
	.section	.rodata,"a",@progbits
	.p2align	6, 0x0
	.amdhsa_kernel _ZL12ssm_conv_f32ILb0ELm128ELm9EEvPKfS1_S1_iiiiPfiiil
		.amdhsa_group_segment_fixed_size 0
		.amdhsa_private_segment_fixed_size 0
		.amdhsa_kernarg_size 72
		.amdhsa_user_sgpr_count 6
		.amdhsa_user_sgpr_private_segment_buffer 1
		.amdhsa_user_sgpr_dispatch_ptr 0
		.amdhsa_user_sgpr_queue_ptr 0
		.amdhsa_user_sgpr_kernarg_segment_ptr 1
		.amdhsa_user_sgpr_dispatch_id 0
		.amdhsa_user_sgpr_flat_scratch_init 0
		.amdhsa_user_sgpr_kernarg_preload_length 0
		.amdhsa_user_sgpr_kernarg_preload_offset 0
		.amdhsa_user_sgpr_private_segment_size 0
		.amdhsa_uses_dynamic_stack 0
		.amdhsa_system_sgpr_private_segment_wavefront_offset 0
		.amdhsa_system_sgpr_workgroup_id_x 1
		.amdhsa_system_sgpr_workgroup_id_y 1
		.amdhsa_system_sgpr_workgroup_id_z 0
		.amdhsa_system_sgpr_workgroup_info 0
		.amdhsa_system_vgpr_workitem_id 0
		.amdhsa_next_free_vgpr 28
		.amdhsa_next_free_sgpr 81
		.amdhsa_accum_offset 28
		.amdhsa_reserve_vcc 1
		.amdhsa_reserve_flat_scratch 0
		.amdhsa_float_round_mode_32 0
		.amdhsa_float_round_mode_16_64 0
		.amdhsa_float_denorm_mode_32 3
		.amdhsa_float_denorm_mode_16_64 3
		.amdhsa_dx10_clamp 1
		.amdhsa_ieee_mode 1
		.amdhsa_fp16_overflow 0
		.amdhsa_tg_split 0
		.amdhsa_exception_fp_ieee_invalid_op 0
		.amdhsa_exception_fp_denorm_src 0
		.amdhsa_exception_fp_ieee_div_zero 0
		.amdhsa_exception_fp_ieee_overflow 0
		.amdhsa_exception_fp_ieee_underflow 0
		.amdhsa_exception_fp_ieee_inexact 0
		.amdhsa_exception_int_div_zero 0
	.end_amdhsa_kernel
	.section	.text._ZL12ssm_conv_f32ILb0ELm128ELm9EEvPKfS1_S1_iiiiPfiiil,"axG",@progbits,_ZL12ssm_conv_f32ILb0ELm128ELm9EEvPKfS1_S1_iiiiPfiiil,comdat
.Lfunc_end16:
	.size	_ZL12ssm_conv_f32ILb0ELm128ELm9EEvPKfS1_S1_iiiiPfiiil, .Lfunc_end16-_ZL12ssm_conv_f32ILb0ELm128ELm9EEvPKfS1_S1_iiiiPfiiil
                                        ; -- End function
	.section	.AMDGPU.csdata,"",@progbits
; Kernel info:
; codeLenInByte = 2816
; NumSgprs: 85
; NumVgprs: 28
; NumAgprs: 0
; TotalNumVgprs: 28
; ScratchSize: 0
; MemoryBound: 0
; FloatMode: 240
; IeeeMode: 1
; LDSByteSize: 0 bytes/workgroup (compile time only)
; SGPRBlocks: 10
; VGPRBlocks: 3
; NumSGPRsForWavesPerEU: 85
; NumVGPRsForWavesPerEU: 28
; AccumOffset: 28
; Occupancy: 8
; WaveLimiterHint : 0
; COMPUTE_PGM_RSRC2:SCRATCH_EN: 0
; COMPUTE_PGM_RSRC2:USER_SGPR: 6
; COMPUTE_PGM_RSRC2:TRAP_HANDLER: 0
; COMPUTE_PGM_RSRC2:TGID_X_EN: 1
; COMPUTE_PGM_RSRC2:TGID_Y_EN: 1
; COMPUTE_PGM_RSRC2:TGID_Z_EN: 0
; COMPUTE_PGM_RSRC2:TIDIG_COMP_CNT: 0
; COMPUTE_PGM_RSRC3_GFX90A:ACCUM_OFFSET: 6
; COMPUTE_PGM_RSRC3_GFX90A:TG_SPLIT: 0
	.section	.text._ZL23ssm_conv_long_token_f32ILb0ELm128ELm9ELl32EEvPKfS1_S1_iiiiPfiiil,"axG",@progbits,_ZL23ssm_conv_long_token_f32ILb0ELm128ELm9ELl32EEvPKfS1_S1_iiiiPfiiil,comdat
	.globl	_ZL23ssm_conv_long_token_f32ILb0ELm128ELm9ELl32EEvPKfS1_S1_iiiiPfiiil ; -- Begin function _ZL23ssm_conv_long_token_f32ILb0ELm128ELm9ELl32EEvPKfS1_S1_iiiiPfiiil
	.p2align	8
	.type	_ZL23ssm_conv_long_token_f32ILb0ELm128ELm9ELl32EEvPKfS1_S1_iiiiPfiiil,@function
_ZL23ssm_conv_long_token_f32ILb0ELm128ELm9ELl32EEvPKfS1_S1_iiiiPfiiil: ; @_ZL23ssm_conv_long_token_f32ILb0ELm128ELm9ELl32EEvPKfS1_S1_iiiiPfiiil
; %bb.0:
	s_load_dwordx4 s[0:3], s[4:5], 0x18
	s_load_dwordx2 s[12:13], s[4:5], 0x0
	s_mov_b32 s10, s7
	v_mov_b32_e32 v1, s10
	s_waitcnt lgkmcnt(0)
	s_mul_i32 s2, s6, s2
	s_ashr_i32 s7, s2, 31
	s_add_u32 s2, s12, s2
	s_addc_u32 s7, s13, s7
	s_ashr_i32 s11, s10, 31
	s_lshl_b64 s[12:13], s[10:11], 7
	s_ashr_i32 s9, s1, 31
	s_mul_i32 s9, s12, s9
	s_mul_hi_u32 s10, s12, s1
	v_alignbit_b32 v1, s11, v1, 25
	s_add_i32 s10, s10, s9
	s_mul_i32 s9, s12, s1
	v_mul_lo_u32 v1, v1, s1
	v_mov_b32_e32 v2, s9
	v_add_u32_e32 v1, s10, v1
	v_mov_b32_e32 v3, s7
	v_add_co_u32_e32 v2, vcc, s2, v2
	s_ashr_i32 s9, s8, 31
	v_addc_co_u32_e32 v3, vcc, v3, v1, vcc
	s_lshl_b64 s[14:15], s[8:9], 5
	s_ashr_i32 s2, s0, 31
	v_mov_b32_e32 v1, s8
	v_alignbit_b32 v1, s9, v1, 27
	s_mul_i32 s2, s14, s2
	s_mul_hi_u32 s7, s14, s0
	v_mul_lo_u32 v1, v1, s0
	s_add_i32 s7, s7, s2
	s_mul_i32 s0, s14, s0
	v_add_u32_e32 v4, s7, v1
	v_add_co_u32_e32 v1, vcc, s0, v2
	v_mul_u32_u24_e32 v2, 0x667, v0
	v_lshrrev_b32_e32 v13, 16, v2
	v_mul_lo_u16_e32 v2, 40, v13
	v_addc_co_u32_e32 v3, vcc, v3, v4, vcc
	s_ashr_i32 s2, s1, 2
	v_sub_u16_e32 v2, v0, v2
	v_mad_u64_u32 v[4:5], s[0:1], s2, v13, v[2:3]
	v_ashrrev_i32_e32 v5, 31, v4
	v_lshlrev_b64 v[4:5], 2, v[4:5]
	v_add_co_u32_e32 v4, vcc, v1, v4
	v_addc_co_u32_e32 v5, vcc, v3, v5, vcc
	global_load_dword v5, v[4:5], off
	v_or_b32_e32 v4, 0x80, v2
	v_mul_lo_u16_e32 v6, 0xcd, v4
	v_lshrrev_b16_e32 v6, 13, v6
	v_add_u32_e32 v17, v13, v6
	v_mul_lo_u16_e32 v6, 40, v6
	v_sub_u16_e32 v4, v4, v6
	v_and_b32_e32 v4, 0xff, v4
	v_mad_u32_u24 v2, v13, 40, v2
	v_lshl_add_u32 v2, v2, 2, 0
	s_movk_i32 s7, 0x80
	s_waitcnt vmcnt(0)
	v_mad_u64_u32 v[6:7], s[0:1], v17, s2, v[4:5]
	v_ashrrev_i32_e32 v7, 31, v6
	v_lshlrev_b64 v[6:7], 2, v[6:7]
	v_add_co_u32_e32 v8, vcc, v1, v6
	v_or_b32_e32 v6, 0x80, v4
	v_addc_co_u32_e32 v9, vcc, v3, v7, vcc
	v_mul_lo_u16_e32 v7, 0xcd, v6
	v_lshrrev_b16_e32 v7, 13, v7
	v_add_u32_e32 v21, v17, v7
	v_mul_lo_u16_e32 v7, 40, v7
	v_sub_u16_e32 v6, v6, v7
	v_and_b32_e32 v6, 0xff, v6
	v_mad_u64_u32 v[10:11], s[0:1], v21, s2, v[6:7]
	v_or_b32_e32 v7, 0x80, v6
	v_mul_lo_u16_e32 v12, 0xcd, v7
	v_lshrrev_b16_e32 v12, 13, v12
	v_add_u32_e32 v25, v21, v12
	v_mul_lo_u16_e32 v12, 40, v12
	v_sub_u16_e32 v7, v7, v12
	v_and_b32_e32 v12, 0xff, v7
	v_or_b32_e32 v7, 0x80, v12
	v_mul_lo_u16_e32 v16, 0xcd, v7
	v_lshrrev_b16_e32 v16, 13, v16
	v_add_u32_e32 v28, v25, v16
	v_mul_lo_u16_e32 v16, 40, v16
	v_sub_u16_e32 v7, v7, v16
	v_and_b32_e32 v16, 0xff, v7
	v_or_b32_e32 v7, 0x80, v16
	v_mul_lo_u16_e32 v20, 0xcd, v7
	v_lshrrev_b16_e32 v20, 13, v20
	v_add_u32_e32 v29, v28, v20
	v_mul_lo_u16_e32 v20, 40, v20
	v_sub_u16_e32 v7, v7, v20
	v_ashrrev_i32_e32 v11, 31, v10
	v_and_b32_e32 v20, 0xff, v7
	v_lshlrev_b64 v[10:11], 2, v[10:11]
	v_mad_u64_u32 v[14:15], s[0:1], v25, s2, v[12:13]
	v_or_b32_e32 v7, 0x80, v20
	v_add_co_u32_e32 v10, vcc, v1, v10
	v_ashrrev_i32_e32 v15, 31, v14
	v_mul_lo_u16_e32 v24, 0xcd, v7
	v_addc_co_u32_e32 v11, vcc, v3, v11, vcc
	v_lshlrev_b64 v[14:15], 2, v[14:15]
	v_mad_u64_u32 v[18:19], s[0:1], v28, s2, v[16:17]
	v_lshrrev_b16_e32 v24, 13, v24
	v_add_co_u32_e32 v14, vcc, v1, v14
	v_ashrrev_i32_e32 v19, 31, v18
	v_add_u32_e32 v30, v29, v24
	v_mul_lo_u16_e32 v24, 40, v24
	v_addc_co_u32_e32 v15, vcc, v3, v15, vcc
	v_lshlrev_b64 v[18:19], 2, v[18:19]
	v_mad_u64_u32 v[22:23], s[0:1], v29, s2, v[20:21]
	v_sub_u16_e32 v7, v7, v24
	v_add_co_u32_e32 v18, vcc, v1, v18
	v_ashrrev_i32_e32 v23, 31, v22
	v_and_b32_e32 v24, 0xff, v7
	v_addc_co_u32_e32 v19, vcc, v3, v19, vcc
	v_lshlrev_b64 v[22:23], 2, v[22:23]
	v_mad_u64_u32 v[26:27], s[0:1], v30, s2, v[24:25]
	v_add_co_u32_e32 v22, vcc, v1, v22
	v_ashrrev_i32_e32 v27, 31, v26
	v_addc_co_u32_e32 v23, vcc, v3, v23, vcc
	v_lshlrev_b64 v[26:27], 2, v[26:27]
	v_add_co_u32_e32 v26, vcc, v1, v26
	v_addc_co_u32_e32 v27, vcc, v3, v27, vcc
	global_load_dword v7, v[8:9], off
	global_load_dword v31, v[10:11], off
	;; [unrolled: 1-line block ×6, first 2 shown]
	v_or_b32_e32 v8, 0x80, v24
	v_mul_lo_u16_e32 v9, 0xcd, v8
	v_lshrrev_b16_e32 v9, 13, v9
	v_add_u32_e32 v14, v30, v9
	v_mul_lo_u16_e32 v9, 40, v9
	v_sub_u16_e32 v8, v8, v9
	v_and_b32_e32 v8, 0xff, v8
	v_mad_u64_u32 v[10:11], s[0:1], v14, s2, v[8:9]
	v_ashrrev_i32_e32 v11, 31, v10
	v_lshlrev_b64 v[10:11], 2, v[10:11]
	v_add_co_u32_e32 v10, vcc, v1, v10
	v_addc_co_u32_e32 v11, vcc, v3, v11, vcc
	global_load_dword v9, v[10:11], off
	ds_write_b32 v2, v5
	v_mad_u32_u24 v2, v17, 40, v4
	v_lshl_add_u32 v2, v2, 2, 0
	v_mad_u64_u32 v[4:5], s[0:1], v30, 40, v[24:25]
	s_waitcnt vmcnt(6)
	ds_write_b32 v2, v7
	v_mad_u32_u24 v2, v21, 40, v6
	v_lshl_add_u32 v2, v2, 2, 0
	s_waitcnt vmcnt(5)
	ds_write_b32 v2, v31
	v_mad_u32_u24 v2, v25, 40, v12
	v_lshl_add_u32 v2, v2, 2, 0
	;; [unrolled: 4-line block ×4, first 2 shown]
	s_waitcnt vmcnt(2)
	ds_write_b32 v2, v34
	v_lshl_add_u32 v2, v4, 2, 0
	s_waitcnt vmcnt(1)
	ds_write_b32 v2, v35
	s_waitcnt vmcnt(0)
	v_mad_u64_u32 v[4:5], s[0:1], v14, 40, v[8:9]
	v_lshl_add_u32 v2, v4, 2, 0
	ds_write_b32 v2, v9
	v_or_b32_e32 v2, 0x80, v8
	v_mul_lo_u16_e32 v4, 0xcd, v2
	v_lshrrev_b16_e32 v4, 13, v4
	v_add_u32_e32 v11, v14, v4
	v_mul_lo_u16_e32 v4, 40, v4
	v_sub_u16_e32 v2, v2, v4
	v_and_b32_e32 v2, 0xff, v2
	v_or_b32_e32 v6, 0x80, v2
	v_mul_lo_u16_e32 v7, 0xcd, v6
	v_lshrrev_b16_e32 v7, 13, v7
	v_add_u32_e32 v15, v11, v7
	v_mul_lo_u16_e32 v7, 40, v7
	v_sub_u16_e32 v6, v6, v7
	v_and_b32_e32 v10, 0xff, v6
	v_or_b32_e32 v8, 0x80, v10
	v_mul_lo_u16_e32 v9, 0xcd, v8
	v_mad_u64_u32 v[4:5], s[0:1], v11, s2, v[2:3]
	v_lshrrev_b16_e32 v9, 13, v9
	v_ashrrev_i32_e32 v5, 31, v4
	v_add_u32_e32 v26, v15, v9
	v_mul_lo_u16_e32 v9, 40, v9
	v_lshlrev_b64 v[4:5], 2, v[4:5]
	v_mad_u64_u32 v[6:7], s[0:1], v15, s2, v[10:11]
	v_sub_u16_e32 v8, v8, v9
	v_add_co_u32_e32 v4, vcc, v1, v4
	v_ashrrev_i32_e32 v7, 31, v6
	v_and_b32_e32 v12, 0xff, v8
	v_addc_co_u32_e32 v5, vcc, v3, v5, vcc
	v_lshlrev_b64 v[6:7], 2, v[6:7]
	v_mad_u64_u32 v[8:9], s[0:1], v26, s2, v[12:13]
	v_add_co_u32_e32 v6, vcc, v1, v6
	v_ashrrev_i32_e32 v9, 31, v8
	v_addc_co_u32_e32 v7, vcc, v3, v7, vcc
	v_lshlrev_b64 v[8:9], 2, v[8:9]
	v_add_co_u32_e32 v8, vcc, v1, v8
	v_addc_co_u32_e32 v9, vcc, v3, v9, vcc
	global_load_dword v27, v[4:5], off
	global_load_dword v28, v[6:7], off
	;; [unrolled: 1-line block ×3, first 2 shown]
	v_or_b32_e32 v4, 0x80, v12
	v_mul_lo_u16_e32 v5, 0xcd, v4
	v_lshrrev_b16_e32 v5, 13, v5
	v_add_u32_e32 v30, v26, v5
	v_mul_lo_u16_e32 v5, 40, v5
	v_sub_u16_e32 v4, v4, v5
	v_and_b32_e32 v14, 0xff, v4
	v_mad_u64_u32 v[4:5], s[0:1], v30, s2, v[14:15]
	v_ashrrev_i32_e32 v5, 31, v4
	v_lshlrev_b64 v[4:5], 2, v[4:5]
	v_add_co_u32_e32 v4, vcc, v1, v4
	v_addc_co_u32_e32 v5, vcc, v3, v5, vcc
	global_load_dword v31, v[4:5], off
	v_mad_u64_u32 v[4:5], s[0:1], v11, 40, v[2:3]
	v_or_b32_e32 v2, 0x80, v14
	v_lshl_add_u32 v32, v4, 2, 0
	v_mul_lo_u16_e32 v4, 0xcd, v2
	v_lshrrev_b16_e32 v4, 13, v4
	v_add_u32_e32 v5, v30, v4
	v_mul_lo_u16_e32 v4, 40, v4
	v_sub_u16_e32 v2, v2, v4
	v_and_b32_e32 v2, 0xff, v2
	v_mad_u64_u32 v[6:7], s[0:1], v5, s2, v[2:3]
	v_ashrrev_i32_e32 v7, 31, v6
	v_lshlrev_b64 v[6:7], 2, v[6:7]
	v_or_b32_e32 v4, 0x80, v2
	v_add_co_u32_e32 v18, vcc, v1, v6
	v_mul_lo_u16_e32 v6, 0xcd, v4
	v_lshrrev_b16_e32 v6, 13, v6
	v_addc_co_u32_e32 v19, vcc, v3, v7, vcc
	v_add_u32_e32 v7, v5, v6
	v_mul_lo_u16_e32 v6, 40, v6
	v_sub_u16_e32 v4, v4, v6
	v_and_b32_e32 v4, 0xff, v4
	v_mad_u64_u32 v[8:9], s[0:1], v7, s2, v[4:5]
	v_ashrrev_i32_e32 v9, 31, v8
	v_lshlrev_b64 v[8:9], 2, v[8:9]
	v_or_b32_e32 v6, 0x80, v4
	v_add_co_u32_e32 v20, vcc, v1, v8
	v_mul_lo_u16_e32 v8, 0xcd, v6
	v_lshrrev_b16_e32 v8, 13, v8
	v_addc_co_u32_e32 v21, vcc, v3, v9, vcc
	v_add_u32_e32 v9, v7, v8
	v_mul_lo_u16_e32 v8, 40, v8
	v_sub_u16_e32 v6, v6, v8
	v_and_b32_e32 v6, 0xff, v6
	v_or_b32_e32 v8, 0x80, v6
	v_mul_lo_u16_e32 v11, 0xcd, v8
	v_mad_u64_u32 v[16:17], s[0:1], v9, s2, v[6:7]
	v_lshrrev_b16_e32 v13, 13, v11
	v_ashrrev_i32_e32 v17, 31, v16
	v_add_u32_e32 v11, v9, v13
	v_mul_lo_u16_e32 v13, 40, v13
	v_lshlrev_b64 v[16:17], 2, v[16:17]
	v_sub_u16_e32 v8, v8, v13
	v_add_co_u32_e32 v22, vcc, v1, v16
	v_and_b32_e32 v8, 0xff, v8
	v_addc_co_u32_e32 v23, vcc, v3, v17, vcc
	v_mad_u64_u32 v[16:17], s[0:1], v11, s2, v[8:9]
	v_ashrrev_i32_e32 v17, 31, v16
	v_lshlrev_b64 v[16:17], 2, v[16:17]
	v_add_co_u32_e32 v24, vcc, v1, v16
	v_addc_co_u32_e32 v25, vcc, v3, v17, vcc
	global_load_dword v35, v[18:19], off
	global_load_dword v39, v[20:21], off
	global_load_dword v13, v[22:23], off
	global_load_dword v17, v[24:25], off
	v_mad_u64_u32 v[18:19], s[0:1], v15, 40, v[10:11]
	v_lshl_add_u32 v10, v18, 2, 0
	s_waitcnt vmcnt(7)
	ds_write_b32 v32, v27
	s_waitcnt vmcnt(6)
	ds_write_b32 v10, v28
	v_mad_u64_u32 v[14:15], s[0:1], v30, 40, v[14:15]
	s_waitcnt vmcnt(1)
	v_mad_u64_u32 v[18:19], s[0:1], v26, 40, v[12:13]
	v_lshl_add_u32 v10, v18, 2, 0
	ds_write_b32 v10, v29
	v_lshl_add_u32 v10, v14, 2, 0
	ds_write_b32 v10, v31
	v_or_b32_e32 v10, 0x80, v8
	v_mul_lo_u16_e32 v12, 0xcd, v10
	v_lshrrev_b16_e32 v12, 13, v12
	v_add_u32_e32 v43, v11, v12
	v_mul_lo_u16_e32 v12, 40, v12
	v_sub_u16_e32 v10, v10, v12
	v_and_b32_e32 v10, 0xff, v10
	v_or_b32_e32 v12, 0x80, v10
	v_mul_lo_u16_e32 v16, 0xcd, v12
	v_lshrrev_b16_e32 v16, 13, v16
	v_add_u32_e32 v47, v43, v16
	v_mul_lo_u16_e32 v16, 40, v16
	v_sub_u16_e32 v12, v12, v16
	v_and_b32_e32 v12, 0xff, v12
	v_or_b32_e32 v16, 0x80, v12
	v_mul_lo_u16_e32 v20, 0xcd, v16
	v_mad_u64_u32 v[14:15], s[0:1], v43, s2, v[10:11]
	v_lshrrev_b16_e32 v20, 13, v20
	v_ashrrev_i32_e32 v15, 31, v14
	v_add_u32_e32 v50, v47, v20
	v_mul_lo_u16_e32 v20, 40, v20
	v_lshlrev_b64 v[14:15], 2, v[14:15]
	v_mad_u64_u32 v[18:19], s[0:1], v47, s2, v[12:13]
	v_sub_u16_e32 v16, v16, v20
	v_add_co_u32_e32 v14, vcc, v1, v14
	v_ashrrev_i32_e32 v19, 31, v18
	v_and_b32_e32 v16, 0xff, v16
	v_addc_co_u32_e32 v15, vcc, v3, v15, vcc
	v_lshlrev_b64 v[18:19], 2, v[18:19]
	s_waitcnt vmcnt(0)
	v_mad_u64_u32 v[20:21], s[0:1], v50, s2, v[16:17]
	v_add_co_u32_e32 v18, vcc, v1, v18
	v_ashrrev_i32_e32 v21, 31, v20
	v_addc_co_u32_e32 v19, vcc, v3, v19, vcc
	v_lshlrev_b64 v[20:21], 2, v[20:21]
	v_add_co_u32_e32 v22, vcc, v1, v20
	v_or_b32_e32 v20, 0x80, v16
	v_addc_co_u32_e32 v23, vcc, v3, v21, vcc
	v_mul_lo_u16_e32 v21, 0xcd, v20
	v_lshrrev_b16_e32 v21, 13, v21
	v_add_u32_e32 v51, v50, v21
	v_mul_lo_u16_e32 v21, 40, v21
	v_sub_u16_e32 v20, v20, v21
	v_and_b32_e32 v20, 0xff, v20
	v_mad_u64_u32 v[24:25], s[0:1], v51, s2, v[20:21]
	v_ashrrev_i32_e32 v25, 31, v24
	v_lshlrev_b64 v[24:25], 2, v[24:25]
	v_or_b32_e32 v21, 0x80, v20
	v_add_co_u32_e32 v28, vcc, v1, v24
	v_mul_lo_u16_e32 v24, 0xcd, v21
	v_lshrrev_b16_e32 v24, 13, v24
	v_addc_co_u32_e32 v29, vcc, v3, v25, vcc
	v_add_u32_e32 v25, v51, v24
	v_mul_lo_u16_e32 v24, 40, v24
	v_sub_u16_e32 v21, v21, v24
	v_and_b32_e32 v24, 0xff, v21
	v_mad_u64_u32 v[26:27], s[0:1], v25, s2, v[24:25]
	v_ashrrev_i32_e32 v27, 31, v26
	v_lshlrev_b64 v[26:27], 2, v[26:27]
	v_or_b32_e32 v21, 0x80, v24
	v_add_co_u32_e32 v30, vcc, v1, v26
	v_mul_lo_u16_e32 v26, 0xcd, v21
	v_lshrrev_b16_e32 v26, 13, v26
	v_addc_co_u32_e32 v31, vcc, v3, v27, vcc
	v_add_u32_e32 v27, v25, v26
	v_mul_lo_u16_e32 v26, 40, v26
	v_sub_u16_e32 v21, v21, v26
	v_and_b32_e32 v26, 0xff, v21
	v_or_b32_e32 v21, 0x80, v26
	v_mul_lo_u16_e32 v34, 0xcd, v21
	v_lshrrev_b16_e32 v34, 13, v34
	v_add_u32_e32 v52, v27, v34
	v_mul_lo_u16_e32 v34, 40, v34
	v_sub_u16_e32 v21, v21, v34
	v_and_b32_e32 v34, 0xff, v21
	v_or_b32_e32 v21, 0x80, v34
	v_mul_lo_u16_e32 v38, 0xcd, v21
	v_lshrrev_b16_e32 v38, 13, v38
	v_add_u32_e32 v53, v52, v38
	v_mul_lo_u16_e32 v38, 40, v38
	v_sub_u16_e32 v21, v21, v38
	v_and_b32_e32 v38, 0xff, v21
	v_or_b32_e32 v21, 0x80, v38
	v_mul_lo_u16_e32 v42, 0xcd, v21
	v_lshrrev_b16_e32 v42, 13, v42
	v_mul_lo_u16_e32 v44, 40, v42
	v_mad_u64_u32 v[32:33], s[0:1], v27, s2, v[26:27]
	v_sub_u16_e32 v21, v21, v44
	v_ashrrev_i32_e32 v33, 31, v32
	v_add_u32_e32 v54, v53, v42
	v_and_b32_e32 v42, 0xff, v21
	v_lshlrev_b64 v[32:33], 2, v[32:33]
	v_mad_u64_u32 v[36:37], s[0:1], v52, s2, v[34:35]
	v_or_b32_e32 v21, 0x80, v42
	v_add_co_u32_e32 v32, vcc, v1, v32
	v_ashrrev_i32_e32 v37, 31, v36
	v_mul_lo_u16_e32 v46, 0xcd, v21
	v_addc_co_u32_e32 v33, vcc, v3, v33, vcc
	v_lshlrev_b64 v[36:37], 2, v[36:37]
	v_mad_u64_u32 v[40:41], s[0:1], v53, s2, v[38:39]
	v_lshrrev_b16_e32 v46, 13, v46
	v_add_co_u32_e32 v36, vcc, v1, v36
	v_ashrrev_i32_e32 v41, 31, v40
	v_mul_lo_u16_e32 v48, 40, v46
	v_addc_co_u32_e32 v37, vcc, v3, v37, vcc
	v_lshlrev_b64 v[40:41], 2, v[40:41]
	v_mad_u64_u32 v[44:45], s[0:1], v54, s2, v[42:43]
	v_sub_u16_e32 v21, v21, v48
	v_add_co_u32_e32 v40, vcc, v1, v40
	v_ashrrev_i32_e32 v45, 31, v44
	v_add_u32_e32 v55, v54, v46
	v_and_b32_e32 v46, 0xff, v21
	v_addc_co_u32_e32 v41, vcc, v3, v41, vcc
	v_lshlrev_b64 v[44:45], 2, v[44:45]
	v_mad_u64_u32 v[48:49], s[0:1], v55, s2, v[46:47]
	v_add_co_u32_e32 v44, vcc, v1, v44
	v_ashrrev_i32_e32 v49, 31, v48
	v_addc_co_u32_e32 v45, vcc, v3, v45, vcc
	v_lshlrev_b64 v[48:49], 2, v[48:49]
	v_add_co_u32_e32 v48, vcc, v1, v48
	v_addc_co_u32_e32 v49, vcc, v3, v49, vcc
	global_load_dword v21, v[14:15], off
	global_load_dword v56, v[18:19], off
	global_load_dword v57, v[22:23], off
	global_load_dword v58, v[28:29], off
	global_load_dword v59, v[30:31], off
	global_load_dword v60, v[32:33], off
	global_load_dword v61, v[36:37], off
	global_load_dword v62, v[40:41], off
	global_load_dword v63, v[44:45], off
                                        ; kill: killed $vgpr40 killed $vgpr41
                                        ; kill: killed $vgpr28 killed $vgpr29
                                        ; kill: killed $vgpr44 killed $vgpr45
                                        ; kill: killed $vgpr30 killed $vgpr31
                                        ; kill: killed $vgpr14 killed $vgpr15
                                        ; kill: killed $vgpr32 killed $vgpr33
                                        ; kill: killed $vgpr18 killed $vgpr19
                                        ; kill: killed $vgpr36 killed $vgpr37
                                        ; kill: killed $vgpr22 killed $vgpr23
	global_load_dword v18, v[48:49], off
	v_mad_u64_u32 v[14:15], s[0:1], v5, 40, v[2:3]
	v_lshl_add_u32 v2, v14, 2, 0
	v_mad_u64_u32 v[4:5], s[0:1], v7, 40, v[4:5]
	ds_write_b32 v2, v35
	v_lshl_add_u32 v2, v4, 2, 0
	v_mad_u64_u32 v[4:5], s[0:1], v9, 40, v[6:7]
	ds_write_b32 v2, v39
	v_lshl_add_u32 v2, v4, 2, 0
	v_mad_u64_u32 v[4:5], s[0:1], v11, 40, v[8:9]
	ds_write_b32 v2, v13
	v_lshl_add_u32 v2, v4, 2, 0
	v_mad_u64_u32 v[4:5], s[0:1], v43, 40, v[10:11]
	ds_write_b32 v2, v17
	v_lshl_add_u32 v2, v4, 2, 0
	v_mad_u64_u32 v[4:5], s[0:1], v47, 40, v[12:13]
	s_waitcnt vmcnt(9)
	ds_write_b32 v2, v21
	v_lshl_add_u32 v2, v4, 2, 0
	v_mad_u64_u32 v[4:5], s[0:1], v50, 40, v[16:17]
	s_waitcnt vmcnt(8)
	ds_write_b32 v2, v56
	;; [unrolled: 4-line block ×9, first 2 shown]
	v_lshl_add_u32 v2, v4, 2, 0
	s_waitcnt vmcnt(0)
	ds_write_b32 v2, v18
	v_or_b32_e32 v2, 0x80, v46
	v_mul_lo_u16_e32 v4, 0xcd, v2
	v_lshrrev_b16_e32 v5, 13, v4
	v_add_u32_e32 v4, v55, v5
	v_mul_lo_u16_e32 v5, 40, v5
	v_sub_u16_e32 v2, v2, v5
	v_and_b32_e32 v2, 0xff, v2
	v_cmp_gt_u32_e32 vcc, s7, v4
	s_and_saveexec_b64 s[0:1], vcc
	s_cbranch_execz .LBB17_2
; %bb.1:
	v_mad_u64_u32 v[6:7], s[8:9], v4, s2, v[2:3]
	v_ashrrev_i32_e32 v7, 31, v6
	v_lshlrev_b64 v[6:7], 2, v[6:7]
	v_add_co_u32_e32 v6, vcc, v1, v6
	v_addc_co_u32_e32 v7, vcc, v3, v7, vcc
	global_load_dword v5, v[6:7], off
	v_mad_u64_u32 v[6:7], s[8:9], v4, 40, v[2:3]
	v_lshl_add_u32 v6, v6, 2, 0
	s_waitcnt vmcnt(0)
	ds_write_b32 v6, v5
.LBB17_2:
	s_or_b64 exec, exec, s[0:1]
	v_or_b32_e32 v2, 0x80, v2
	v_mul_lo_u16_e32 v5, 0xcd, v2
	v_lshrrev_b16_e32 v5, 13, v5
	v_add_u32_e32 v4, v4, v5
	v_mul_lo_u16_e32 v5, 40, v5
	v_sub_u16_e32 v2, v2, v5
	v_and_b32_e32 v2, 0xff, v2
	v_cmp_gt_u32_e32 vcc, s7, v4
	s_and_saveexec_b64 s[0:1], vcc
	s_cbranch_execz .LBB17_4
; %bb.3:
	v_mad_u64_u32 v[6:7], s[8:9], v4, s2, v[2:3]
	v_ashrrev_i32_e32 v7, 31, v6
	v_lshlrev_b64 v[6:7], 2, v[6:7]
	v_add_co_u32_e32 v6, vcc, v1, v6
	v_addc_co_u32_e32 v7, vcc, v3, v7, vcc
	global_load_dword v5, v[6:7], off
	v_mad_u64_u32 v[6:7], s[8:9], v4, 40, v[2:3]
	v_lshl_add_u32 v6, v6, 2, 0
	s_waitcnt vmcnt(0)
	ds_write_b32 v6, v5
.LBB17_4:
	s_or_b64 exec, exec, s[0:1]
	;; [unrolled: 23-line block ×6, first 2 shown]
	v_or_b32_e32 v2, 0x80, v2
	v_mul_lo_u16_e32 v5, 0xcd, v2
	v_lshrrev_b16_e32 v5, 13, v5
	v_add_u32_e32 v4, v4, v5
	v_mul_lo_u16_e32 v5, 40, v5
	s_movk_i32 s0, 0x80
	v_sub_u16_e32 v2, v2, v5
	v_and_b32_e32 v2, 0xff, v2
	v_cmp_gt_u32_e32 vcc, s0, v4
	s_and_saveexec_b64 s[0:1], vcc
	s_cbranch_execz .LBB17_14
; %bb.13:
	v_mad_u64_u32 v[6:7], s[8:9], v4, s2, v[2:3]
	v_ashrrev_i32_e32 v7, 31, v6
	v_lshlrev_b64 v[6:7], 2, v[6:7]
	v_add_co_u32_e32 v6, vcc, v1, v6
	v_addc_co_u32_e32 v7, vcc, v3, v7, vcc
	global_load_dword v5, v[6:7], off
	v_mad_u64_u32 v[6:7], s[8:9], v4, 40, v[2:3]
	v_lshl_add_u32 v6, v6, 2, 0
	s_waitcnt vmcnt(0)
	ds_write_b32 v6, v5
.LBB17_14:
	s_or_b64 exec, exec, s[0:1]
	s_load_dwordx4 s[8:11], s[4:5], 0x8
	s_load_dwordx2 s[0:1], s[4:5], 0x28
	s_movk_i32 s7, 0x380
	v_cmp_gt_u32_e32 vcc, s7, v0
	s_and_saveexec_b64 s[16:17], vcc
	s_cbranch_execz .LBB17_35
; %bb.15:
	v_or_b32_e32 v2, 0x80, v2
	v_mul_lo_u16_e32 v5, 0xcd, v2
	v_lshrrev_b16_e32 v5, 13, v5
	v_add_u32_e32 v4, v4, v5
	v_mul_lo_u16_e32 v5, 40, v5
	s_movk_i32 s7, 0x80
	v_sub_u16_e32 v2, v2, v5
	v_and_b32_e32 v2, 0xff, v2
	v_cmp_gt_u32_e32 vcc, s7, v4
	s_and_saveexec_b64 s[18:19], vcc
	s_cbranch_execz .LBB17_17
; %bb.16:
	v_mad_u64_u32 v[6:7], s[20:21], v4, s2, v[2:3]
	v_ashrrev_i32_e32 v7, 31, v6
	v_lshlrev_b64 v[6:7], 2, v[6:7]
	v_add_co_u32_e32 v6, vcc, v1, v6
	v_addc_co_u32_e32 v7, vcc, v3, v7, vcc
	global_load_dword v5, v[6:7], off
	v_mad_u64_u32 v[6:7], s[20:21], v4, 40, v[2:3]
	v_lshl_add_u32 v6, v6, 2, 0
	s_waitcnt vmcnt(0)
	ds_write_b32 v6, v5
.LBB17_17:
	s_or_b64 exec, exec, s[18:19]
	s_movk_i32 s7, 0x300
	v_cmp_gt_u32_e32 vcc, s7, v0
	s_and_b64 exec, exec, vcc
	s_cbranch_execz .LBB17_35
; %bb.18:
	v_or_b32_e32 v2, 0x80, v2
	v_mul_lo_u16_e32 v5, 0xcd, v2
	v_lshrrev_b16_e32 v5, 13, v5
	v_add_u32_e32 v4, v4, v5
	v_mul_lo_u16_e32 v5, 40, v5
	s_movk_i32 s7, 0x80
	v_sub_u16_e32 v2, v2, v5
	v_and_b32_e32 v2, 0xff, v2
	v_cmp_gt_u32_e32 vcc, s7, v4
	s_and_saveexec_b64 s[18:19], vcc
	s_cbranch_execz .LBB17_20
; %bb.19:
	v_mad_u64_u32 v[6:7], s[20:21], v4, s2, v[2:3]
	v_ashrrev_i32_e32 v7, 31, v6
	v_lshlrev_b64 v[6:7], 2, v[6:7]
	v_add_co_u32_e32 v6, vcc, v1, v6
	v_addc_co_u32_e32 v7, vcc, v3, v7, vcc
	global_load_dword v5, v[6:7], off
	v_mad_u64_u32 v[6:7], s[20:21], v4, 40, v[2:3]
	v_lshl_add_u32 v6, v6, 2, 0
	s_waitcnt vmcnt(0)
	ds_write_b32 v6, v5
.LBB17_20:
	s_or_b64 exec, exec, s[18:19]
	s_movk_i32 s7, 0x280
	v_cmp_gt_u32_e32 vcc, s7, v0
	s_and_b64 exec, exec, vcc
	;; [unrolled: 29-line block ×5, first 2 shown]
	s_cbranch_execz .LBB17_35
; %bb.30:
	v_or_b32_e32 v2, 0x80, v2
	v_mul_lo_u16_e32 v5, 0xcd, v2
	v_lshrrev_b16_e32 v5, 13, v5
	v_add_u32_e32 v4, v4, v5
	v_mul_lo_u16_e32 v5, 40, v5
	s_movk_i32 s7, 0x80
	v_sub_u16_e32 v2, v2, v5
	v_and_b32_e32 v2, 0xff, v2
	v_cmp_gt_u32_e32 vcc, s7, v4
	s_and_saveexec_b64 s[18:19], vcc
	s_cbranch_execz .LBB17_32
; %bb.31:
	v_mad_u64_u32 v[6:7], s[20:21], v4, s2, v[2:3]
	v_ashrrev_i32_e32 v7, 31, v6
	v_lshlrev_b64 v[6:7], 2, v[6:7]
	v_add_co_u32_e32 v6, vcc, v1, v6
	v_addc_co_u32_e32 v7, vcc, v3, v7, vcc
	global_load_dword v5, v[6:7], off
	v_mad_u64_u32 v[6:7], s[20:21], v4, 40, v[2:3]
	v_lshl_add_u32 v6, v6, 2, 0
	s_waitcnt vmcnt(0)
	ds_write_b32 v6, v5
.LBB17_32:
	s_or_b64 exec, exec, s[18:19]
	v_cmp_gt_u32_e32 vcc, s7, v0
	s_and_b64 exec, exec, vcc
	s_cbranch_execz .LBB17_35
; %bb.33:
	v_or_b32_e32 v5, 0x80, v2
	v_mul_lo_u16_e32 v2, 0xcd, v5
	v_lshrrev_b16_e32 v6, 13, v2
	v_add_u32_e32 v2, v4, v6
	v_cmp_gt_u32_e32 vcc, s7, v2
	s_and_b64 exec, exec, vcc
	s_cbranch_execz .LBB17_35
; %bb.34:
	v_mul_lo_u16_e32 v4, 40, v6
	v_sub_u16_e32 v4, v5, v4
	v_and_b32_e32 v4, 0xff, v4
	v_mad_u64_u32 v[6:7], s[18:19], v2, s2, v[4:5]
	v_ashrrev_i32_e32 v7, 31, v6
	v_lshlrev_b64 v[6:7], 2, v[6:7]
	v_add_co_u32_e32 v6, vcc, v1, v6
	v_addc_co_u32_e32 v7, vcc, v3, v7, vcc
	global_load_dword v1, v[6:7], off
	v_mad_u64_u32 v[2:3], s[18:19], v2, 40, v[4:5]
	v_lshl_add_u32 v2, v2, 2, 0
	s_waitcnt vmcnt(0)
	ds_write_b32 v2, v1
.LBB17_35:
	s_or_b64 exec, exec, s[16:17]
	s_ashr_i32 s2, s3, 31
	s_mul_hi_u32 s7, s12, s3
	s_mul_i32 s2, s12, s2
	s_add_i32 s2, s7, s2
	s_mul_i32 s7, s13, s3
	s_add_i32 s2, s2, s7
	s_mul_i32 s7, s12, s3
	s_waitcnt lgkmcnt(0)
	s_add_u32 s7, s8, s7
	s_addc_u32 s2, s9, s2
	s_ashr_i32 s3, s3, 2
	v_mul_lo_u32 v2, s3, v0
	v_ashrrev_i32_e32 v3, 31, v2
	v_lshlrev_b64 v[2:3], 2, v[2:3]
	v_mov_b32_e32 v1, s2
	v_add_co_u32_e32 v12, vcc, s7, v2
	v_addc_co_u32_e32 v13, vcc, v1, v3, vcc
	s_barrier
	global_load_dword v11, v[12:13], off offset:32
	global_load_dwordx4 v[6:9], v[12:13], off offset:16
	global_load_dwordx4 v[2:5], v[12:13], off
	s_cmp_eq_u64 s[10:11], 0
	v_lshlrev_b32_e32 v32, 2, v0
	s_cbranch_scc1 .LBB17_37
; %bb.36:
	s_lshl_b64 s[2:3], s[12:13], 2
	s_add_u32 s2, s10, s2
	s_addc_u32 s3, s11, s3
	global_load_dword v12, v32, s[2:3]
	s_branch .LBB17_38
.LBB17_37:
	v_mov_b32_e32 v12, 0
.LBB17_38:
	s_load_dwordx2 s[2:3], s[4:5], 0x40
	s_waitcnt lgkmcnt(0)
	s_sub_u32 s8, s2, s14
	s_subb_u32 s9, s3, s15
	v_cmp_lt_i64_e64 s[2:3], s[8:9], 1
	s_and_b64 vcc, exec, s[2:3]
	s_cbranch_vccnz .LBB17_46
; %bb.39:
	s_load_dwordx4 s[16:19], s[4:5], 0x30
	s_waitcnt vmcnt(0)
	v_mov_b32_e32 v14, v3
	v_mov_b32_e32 v15, v4
	;; [unrolled: 1-line block ×4, first 2 shown]
	s_waitcnt lgkmcnt(0)
	s_ashr_i32 s2, s17, 31
	s_mul_hi_u32 s3, s14, s17
	s_mul_i32 s2, s14, s2
	s_add_i32 s2, s3, s2
	s_mul_i32 s3, s15, s17
	s_add_i32 s15, s2, s3
	s_ashr_i32 s2, s16, 31
	s_mul_hi_u32 s3, s12, s16
	s_mul_i32 s2, s12, s2
	s_mul_i32 s10, s6, s18
	s_add_i32 s2, s3, s2
	s_mul_i32 s3, s13, s16
	s_ashr_i32 s11, s10, 31
	s_add_i32 s13, s2, s3
	s_ashr_i32 s2, s17, 2
	v_cmp_lt_i64_e64 s[6:7], s[8:9], 32
	s_and_b64 s[6:7], s[6:7], exec
	s_cselect_b32 s7, s9, 0
	s_cselect_b32 s6, s8, 32
	s_mul_i32 s14, s14, s17
	s_mul_i32 s12, s12, s16
	v_cmp_gt_i64_e64 s[16:17], s[6:7], 1
	s_and_b64 s[16:17], s[16:17], exec
	s_cselect_b32 s7, s7, 0
	s_cselect_b32 s6, s6, 1
	s_cmp_eq_u64 s[8:9], 1
	s_cselect_b64 s[8:9], -1, 0
	s_cmp_lg_u32 s2, 1
	s_cselect_b64 s[16:17], -1, 0
	s_or_b64 s[8:9], s[8:9], s[16:17]
	v_mov_b32_e32 v6, v7
	v_mov_b32_e32 v7, v8
	;; [unrolled: 1-line block ×3, first 2 shown]
	s_mov_b32 s5, 0
	v_mul_u32_u24_e32 v33, 40, v0
	s_and_b64 vcc, exec, s[8:9]
	s_cbranch_vccnz .LBB17_43
; %bb.40:
	s_add_u32 s3, s0, s10
	s_addc_u32 s4, s1, s11
	s_add_u32 s3, s3, s14
	v_lshl_add_u32 v34, v33, 2, 0
	s_addc_u32 s4, s4, s15
	ds_read2_b32 v[30:31], v34 offset1:1
	s_add_u32 s3, s3, s12
	s_addc_u32 s4, s4, s13
	v_mov_b32_e32 v1, s4
	v_add_co_u32_e32 v0, vcc, s3, v32
	s_and_b32 s4, s6, 62
	v_addc_co_u32_e32 v1, vcc, 0, v1, vcc
	v_mov_b32_e32 v3, v2
	v_mov_b32_e32 v8, v14
	v_mov_b32_e32 v9, v14
	v_mov_b32_e32 v16, v15
	v_mov_b32_e32 v17, v15
	v_mov_b32_e32 v18, v4
	v_mov_b32_e32 v19, v4
	v_mov_b32_e32 v20, v5
	v_mov_b32_e32 v21, v5
	v_mov_b32_e32 v22, v6
	v_mov_b32_e32 v23, v6
	v_mov_b32_e32 v24, v7
	v_mov_b32_e32 v25, v7
	v_mov_b32_e32 v26, v10
	v_mov_b32_e32 v27, v10
	v_mov_b32_e32 v28, v11
	v_mov_b32_e32 v29, v11
	v_mov_b32_e32 v13, v12
	s_mov_b64 s[8:9], s[4:5]
.LBB17_41:                              ; =>This Inner Loop Header: Depth=1
	s_waitcnt lgkmcnt(0)
	v_pk_fma_f32 v[36:37], v[2:3], v[30:31], 0 op_sel_hi:[1,1,0]
	ds_read2_b32 v[38:39], v34 offset0:1 offset1:2
	ds_read2_b32 v[30:31], v34 offset0:2 offset1:3
	;; [unrolled: 1-line block ×8, first 2 shown]
	s_waitcnt lgkmcnt(7)
	v_pk_fma_f32 v[36:37], v[8:9], v[38:39], v[36:37]
	s_waitcnt lgkmcnt(6)
	v_pk_fma_f32 v[36:37], v[16:17], v[30:31], v[36:37]
	;; [unrolled: 2-line block ×8, first 2 shown]
	s_add_u32 s8, s8, -2
	v_pk_add_f32 v[36:37], v[12:13], v[36:37]
	v_add_u32_e32 v35, 8, v34
	s_addc_u32 s9, s9, -1
	global_store_dwordx2 v[0:1], v[36:37], off
	v_add_co_u32_e32 v0, vcc, 8, v0
	v_mov_b32_e32 v34, v35
	s_cmp_lg_u64 s[8:9], 0
	v_addc_co_u32_e32 v1, vcc, 0, v1, vcc
	s_cbranch_scc1 .LBB17_41
; %bb.42:
	s_cmp_lg_u64 s[6:7], s[4:5]
	s_cselect_b64 s[8:9], -1, 0
	s_and_b64 vcc, exec, s[8:9]
	s_cbranch_vccnz .LBB17_44
	s_branch .LBB17_46
.LBB17_43:
	s_mov_b64 s[4:5], 0
	s_cbranch_execz .LBB17_46
.LBB17_44:
	s_ashr_i32 s3, s2, 31
	s_sub_u32 s6, s4, s6
	s_subb_u32 s7, s5, s7
	s_add_u32 s5, s12, s14
	s_mul_hi_i32 s9, s4, s2
	s_mul_i32 s8, s4, s2
	s_addc_u32 s12, s13, s15
	s_lshl_b64 s[8:9], s[8:9], 2
	s_add_u32 s5, s5, s8
	s_addc_u32 s8, s12, s9
	v_add_u32_e32 v0, s4, v33
	s_add_u32 s0, s0, s10
	v_lshl_add_u32 v13, v0, 2, 0
	s_addc_u32 s1, s1, s11
	ds_read_b32 v8, v13
	s_add_u32 s0, s0, s5
	s_addc_u32 s1, s1, s8
	v_mov_b32_e32 v1, s1
	v_add_co_u32_e32 v0, vcc, s0, v32
	s_lshl_b64 s[2:3], s[2:3], 2
	v_addc_co_u32_e32 v1, vcc, 0, v1, vcc
	v_mov_b32_e32 v3, s3
.LBB17_45:                              ; =>This Inner Loop Header: Depth=1
	s_waitcnt lgkmcnt(0)
	v_fma_f32 v24, v2, v8, 0
	ds_read2_b32 v[8:9], v13 offset0:1 offset1:2
	ds_read2_b32 v[16:17], v13 offset0:3 offset1:4
	;; [unrolled: 1-line block ×4, first 2 shown]
	v_add_u32_e32 v22, 4, v13
	v_mov_b32_e32 v13, v22
	s_waitcnt lgkmcnt(3)
	v_pk_mul_f32 v[22:23], v[14:15], v[8:9]
	v_add_f32_e32 v9, v24, v22
	s_waitcnt lgkmcnt(2)
	v_pk_mul_f32 v[16:17], v[4:5], v[16:17]
	v_add_f32_e32 v9, v9, v23
	v_add_f32_e32 v9, v9, v16
	s_waitcnt lgkmcnt(1)
	v_pk_mul_f32 v[18:19], v[6:7], v[18:19]
	v_add_f32_e32 v9, v9, v17
	v_add_f32_e32 v9, v9, v18
	s_add_u32 s6, s6, 1
	s_waitcnt lgkmcnt(0)
	v_pk_mul_f32 v[20:21], v[10:11], v[20:21]
	v_add_f32_e32 v9, v9, v19
	s_addc_u32 s7, s7, 0
	v_add_f32_e32 v9, v9, v20
	s_cmp_eq_u64 s[6:7], 0
	v_add_f32_e32 v9, v9, v21
	s_cselect_b64 s[0:1], -1, 0
	v_add_f32_e32 v9, v12, v9
	s_andn2_b64 vcc, exec, s[0:1]
	global_store_dword v[0:1], v9, off
	v_add_co_u32_e64 v0, s[0:1], s2, v0
	v_addc_co_u32_e64 v1, s[0:1], v1, v3, s[0:1]
	s_cbranch_vccnz .LBB17_45
.LBB17_46:
	s_endpgm
	.section	.rodata,"a",@progbits
	.p2align	6, 0x0
	.amdhsa_kernel _ZL23ssm_conv_long_token_f32ILb0ELm128ELm9ELl32EEvPKfS1_S1_iiiiPfiiil
		.amdhsa_group_segment_fixed_size 0
		.amdhsa_private_segment_fixed_size 0
		.amdhsa_kernarg_size 72
		.amdhsa_user_sgpr_count 6
		.amdhsa_user_sgpr_private_segment_buffer 1
		.amdhsa_user_sgpr_dispatch_ptr 0
		.amdhsa_user_sgpr_queue_ptr 0
		.amdhsa_user_sgpr_kernarg_segment_ptr 1
		.amdhsa_user_sgpr_dispatch_id 0
		.amdhsa_user_sgpr_flat_scratch_init 0
		.amdhsa_user_sgpr_kernarg_preload_length 0
		.amdhsa_user_sgpr_kernarg_preload_offset 0
		.amdhsa_user_sgpr_private_segment_size 0
		.amdhsa_uses_dynamic_stack 0
		.amdhsa_system_sgpr_private_segment_wavefront_offset 0
		.amdhsa_system_sgpr_workgroup_id_x 1
		.amdhsa_system_sgpr_workgroup_id_y 1
		.amdhsa_system_sgpr_workgroup_id_z 1
		.amdhsa_system_sgpr_workgroup_info 0
		.amdhsa_system_vgpr_workitem_id 0
		.amdhsa_next_free_vgpr 64
		.amdhsa_next_free_sgpr 22
		.amdhsa_accum_offset 64
		.amdhsa_reserve_vcc 1
		.amdhsa_reserve_flat_scratch 0
		.amdhsa_float_round_mode_32 0
		.amdhsa_float_round_mode_16_64 0
		.amdhsa_float_denorm_mode_32 3
		.amdhsa_float_denorm_mode_16_64 3
		.amdhsa_dx10_clamp 1
		.amdhsa_ieee_mode 1
		.amdhsa_fp16_overflow 0
		.amdhsa_tg_split 0
		.amdhsa_exception_fp_ieee_invalid_op 0
		.amdhsa_exception_fp_denorm_src 0
		.amdhsa_exception_fp_ieee_div_zero 0
		.amdhsa_exception_fp_ieee_overflow 0
		.amdhsa_exception_fp_ieee_underflow 0
		.amdhsa_exception_fp_ieee_inexact 0
		.amdhsa_exception_int_div_zero 0
	.end_amdhsa_kernel
	.section	.text._ZL23ssm_conv_long_token_f32ILb0ELm128ELm9ELl32EEvPKfS1_S1_iiiiPfiiil,"axG",@progbits,_ZL23ssm_conv_long_token_f32ILb0ELm128ELm9ELl32EEvPKfS1_S1_iiiiPfiiil,comdat
.Lfunc_end17:
	.size	_ZL23ssm_conv_long_token_f32ILb0ELm128ELm9ELl32EEvPKfS1_S1_iiiiPfiiil, .Lfunc_end17-_ZL23ssm_conv_long_token_f32ILb0ELm128ELm9ELl32EEvPKfS1_S1_iiiiPfiiil
                                        ; -- End function
	.section	.AMDGPU.csdata,"",@progbits
; Kernel info:
; codeLenInByte = 5708
; NumSgprs: 26
; NumVgprs: 64
; NumAgprs: 0
; TotalNumVgprs: 64
; ScratchSize: 0
; MemoryBound: 0
; FloatMode: 240
; IeeeMode: 1
; LDSByteSize: 0 bytes/workgroup (compile time only)
; SGPRBlocks: 3
; VGPRBlocks: 7
; NumSGPRsForWavesPerEU: 26
; NumVGPRsForWavesPerEU: 64
; AccumOffset: 64
; Occupancy: 8
; WaveLimiterHint : 0
; COMPUTE_PGM_RSRC2:SCRATCH_EN: 0
; COMPUTE_PGM_RSRC2:USER_SGPR: 6
; COMPUTE_PGM_RSRC2:TRAP_HANDLER: 0
; COMPUTE_PGM_RSRC2:TGID_X_EN: 1
; COMPUTE_PGM_RSRC2:TGID_Y_EN: 1
; COMPUTE_PGM_RSRC2:TGID_Z_EN: 1
; COMPUTE_PGM_RSRC2:TIDIG_COMP_CNT: 0
; COMPUTE_PGM_RSRC3_GFX90A:ACCUM_OFFSET: 15
; COMPUTE_PGM_RSRC3_GFX90A:TG_SPLIT: 0
	.section	.text._ZL12ssm_conv_f32ILb0ELm128ELm15EEvPKfS1_S1_iiiiPfiiil,"axG",@progbits,_ZL12ssm_conv_f32ILb0ELm128ELm15EEvPKfS1_S1_iiiiPfiiil,comdat
	.globl	_ZL12ssm_conv_f32ILb0ELm128ELm15EEvPKfS1_S1_iiiiPfiiil ; -- Begin function _ZL12ssm_conv_f32ILb0ELm128ELm15EEvPKfS1_S1_iiiiPfiiil
	.p2align	8
	.type	_ZL12ssm_conv_f32ILb0ELm128ELm15EEvPKfS1_S1_iiiiPfiiil,@function
_ZL12ssm_conv_f32ILb0ELm128ELm15EEvPKfS1_S1_iiiiPfiiil: ; @_ZL12ssm_conv_f32ILb0ELm128ELm15EEvPKfS1_S1_iiiiPfiiil
; %bb.0:
	s_load_dwordx2 s[0:1], s[4:5], 0x10
	s_mov_b32 s8, s7
	s_ashr_i32 s9, s7, 31
	s_lshl_b64 s[18:19], s[8:9], 7
	v_lshlrev_b32_e32 v15, 2, v0
	s_waitcnt lgkmcnt(0)
	s_cmp_eq_u64 s[0:1], 0
	s_cbranch_scc1 .LBB18_2
; %bb.1:
	s_lshl_b64 s[2:3], s[18:19], 2
	s_add_u32 s0, s0, s2
	s_addc_u32 s1, s1, s3
	global_load_dword v31, v15, s[0:1]
	s_load_dwordx2 s[16:17], s[4:5], 0x40
	s_waitcnt lgkmcnt(0)
	v_cmp_lt_i64_e64 s[0:1], s[16:17], 1
	s_and_b64 vcc, exec, s[0:1]
	s_cbranch_vccz .LBB18_3
	s_branch .LBB18_6
.LBB18_2:
	v_mov_b32_e32 v31, 0
	s_load_dwordx2 s[16:17], s[4:5], 0x40
	s_waitcnt lgkmcnt(0)
	v_cmp_lt_i64_e64 s[0:1], s[16:17], 1
	s_and_b64 vcc, exec, s[0:1]
	s_cbranch_vccnz .LBB18_6
.LBB18_3:
	s_load_dwordx4 s[12:15], s[4:5], 0x1c
	s_load_dwordx4 s[0:3], s[4:5], 0x0
	v_mov_b32_e32 v1, s8
	v_alignbit_b32 v1, s9, v1, 25
	s_waitcnt lgkmcnt(0)
	s_ashr_i32 s7, s14, 31
	s_mul_hi_u32 s8, s18, s14
	s_mul_i32 s7, s18, s7
	v_mul_lo_u32 v1, v1, s14
	s_add_i32 s8, s8, s7
	s_mul_i32 s7, s18, s14
	v_add_u32_e32 v1, s8, v1
	s_ashr_i32 s8, s14, 2
	v_mul_lo_u32 v2, s8, v0
	v_mov_b32_e32 v4, s7
	v_mov_b32_e32 v5, s3
	v_ashrrev_i32_e32 v3, 31, v2
	v_add_co_u32_e32 v4, vcc, s2, v4
	v_addc_co_u32_e32 v1, vcc, v5, v1, vcc
	v_lshlrev_b64 v[2:3], 2, v[2:3]
	v_add_co_u32_e32 v34, vcc, v4, v2
	v_addc_co_u32_e32 v35, vcc, v1, v3, vcc
	global_load_dwordx4 v[16:19], v[34:35], off
	s_load_dwordx2 s[14:15], s[4:5], 0x28
	s_load_dwordx4 s[8:11], s[4:5], 0x30
	s_ashr_i32 s4, s12, 31
	s_mul_hi_u32 s5, s18, s12
	s_mul_i32 s4, s18, s4
	s_add_i32 s4, s5, s4
	s_mul_i32 s5, s19, s12
	s_mul_i32 s2, s6, s13
	s_add_i32 s7, s4, s5
	s_waitcnt lgkmcnt(0)
	s_mul_i32 s4, s6, s10
	s_ashr_i32 s3, s2, 31
	s_ashr_i32 s5, s4, 31
	s_add_u32 s10, s14, s4
	s_addc_u32 s13, s15, s5
	s_ashr_i32 s6, s8, 31
	s_mul_hi_u32 s20, s18, s8
	s_mul_i32 s6, s18, s6
	s_add_i32 s6, s20, s6
	s_mul_i32 s19, s19, s8
	s_add_i32 s6, s6, s19
	s_mul_i32 s8, s18, s8
	s_mul_i32 s11, s18, s12
	s_add_u32 s18, s10, s8
	s_addc_u32 s19, s13, s6
	s_add_u32 s10, s0, s2
	s_addc_u32 s13, s1, s3
	;; [unrolled: 2-line block ×3, first 2 shown]
	s_ashr_i32 s12, s12, 2
	v_mul_lo_u32 v0, s12, v0
	v_ashrrev_i32_e32 v1, 31, v0
	v_lshlrev_b64 v[32:33], 2, v[0:1]
	v_mov_b32_e32 v0, s13
	v_add_co_u32_e32 v36, vcc, s10, v32
	v_addc_co_u32_e32 v37, vcc, v0, v33, vcc
	global_load_dwordx4 v[0:3], v[36:37], off
	global_load_dwordx4 v[20:23], v[34:35], off offset:16
	global_load_dwordx4 v[4:7], v[36:37], off offset:16
	global_load_dwordx4 v[24:27], v[34:35], off offset:32
	global_load_dwordx4 v[8:11], v[36:37], off offset:32
	global_load_dwordx3 v[28:30], v[34:35], off offset:48
	global_load_dwordx3 v[12:14], v[36:37], off offset:48
	s_cmp_eq_u64 s[16:17], 1
	s_waitcnt vmcnt(6)
	v_fma_f32 v34, v16, v0, 0
	v_fmac_f32_e32 v34, v17, v1
	v_fmac_f32_e32 v34, v18, v2
	v_fmac_f32_e32 v34, v19, v3
	s_waitcnt vmcnt(4)
	v_fmac_f32_e32 v34, v20, v4
	v_fmac_f32_e32 v34, v21, v5
	v_fmac_f32_e32 v34, v22, v6
	v_fmac_f32_e32 v34, v23, v7
	s_waitcnt vmcnt(2)
	v_fmac_f32_e32 v34, v24, v8
	;; [unrolled: 5-line block ×3, first 2 shown]
	v_fmac_f32_e32 v34, v29, v13
	v_fmac_f32_e32 v34, v30, v14
	v_add_f32_e32 v34, v31, v34
	global_store_dword v15, v34, s[18:19]
	s_cbranch_scc1 .LBB18_6
; %bb.4:
	s_ashr_i32 s12, s9, 2
	s_ashr_i32 s13, s12, 31
	s_add_u32 s0, s0, s2
	s_addc_u32 s1, s1, s3
	s_add_u32 s0, s0, s11
	s_addc_u32 s1, s1, s7
	v_add_co_u32_e32 v32, vcc, s0, v32
	s_add_u32 s0, s16, -1
	v_mov_b32_e32 v34, s1
	s_addc_u32 s1, s17, -1
	s_lshl_b64 s[2:3], s[12:13], 2
	s_add_u32 s7, s8, s2
	s_addc_u32 s6, s6, s3
	s_add_u32 s4, s14, s4
	v_addc_co_u32_e32 v33, vcc, v34, v33, vcc
	s_addc_u32 s5, s15, s5
	v_add_co_u32_e32 v32, vcc, 60, v32
	s_add_u32 s4, s4, s7
	v_addc_co_u32_e32 v33, vcc, 0, v33, vcc
	s_addc_u32 s5, s5, s6
	v_mov_b32_e32 v35, s5
	v_add_co_u32_e32 v34, vcc, s4, v15
	v_addc_co_u32_e32 v35, vcc, 0, v35, vcc
	s_mov_b64 s[4:5], 1
	s_mov_b64 s[6:7], 0
	;; [unrolled: 1-line block ×16, first 2 shown]
.LBB18_5:                               ; =>This Inner Loop Header: Depth=1
	s_add_u32 s33, 0, 0x11108400
	s_addc_u32 s38, 0, 49
	s_mul_hi_u32 s40, s33, -15
	s_add_i32 s38, s38, 0x111110e0
	s_sub_i32 s40, s40, s33
	s_mul_i32 s43, s38, -15
	s_mul_i32 s39, s33, -15
	s_add_i32 s40, s40, s43
	s_mul_hi_u32 s41, s33, s39
	s_mul_i32 s44, s33, s40
	s_mul_hi_u32 s43, s33, s40
	s_add_u32 s41, s41, s44
	s_mul_hi_u32 s42, s38, s39
	s_mul_i32 s39, s38, s39
	s_addc_u32 s43, 0, s43
	s_add_u32 s39, s41, s39
	s_mul_hi_u32 s45, s38, s40
	s_addc_u32 s39, s43, s42
	s_mul_i32 s40, s38, s40
	s_addc_u32 s41, s45, 0
	global_load_dword v36, v[32:33], off
	v_add_co_u32_e32 v32, vcc, 4, v32
	s_add_u32 s39, s39, s40
	v_addc_co_u32_e32 v33, vcc, 0, v33, vcc
	v_mov_b32_e32 v38, s39
	s_addc_u32 s40, 0, s41
	v_add_co_u32_e32 v38, vcc, s33, v38
	s_cmp_lg_u64 vcc, 0
	v_readfirstlane_b32 s60, v38
	s_addc_u32 s33, s38, s40
	s_mul_hi_u32 s38, s4, s60
	s_mul_i32 s53, s4, s33
	s_mul_hi_u32 s44, s4, s33
	s_add_u32 s38, s38, s53
	s_mul_i32 s40, s5, s60
	s_addc_u32 s44, 0, s44
	s_mul_hi_u32 s39, s5, s60
	s_add_u32 s38, s38, s40
	s_mul_hi_u32 s53, s5, s33
	s_addc_u32 s39, s44, s39
	s_mul_i32 s38, s5, s33
	s_addc_u32 s40, s53, 0
	s_add_u32 s44, s39, s38
	s_addc_u32 s38, 0, s40
	s_mul_i32 s40, s44, 15
	s_mul_hi_u32 s39, s44, 15
	s_mul_i32 s38, s38, 15
	v_mov_b32_e32 v38, s40
	s_add_i32 s39, s39, s38
	v_sub_co_u32_e32 v38, vcc, s4, v38
	s_cmp_lg_u64 vcc, 0
	v_subrev_co_u32_e32 v39, vcc, 15, v38
	s_subb_u32 s39, s5, s39
	s_cmp_lg_u64 vcc, 0
	v_readfirstlane_b32 s38, v39
	s_subb_u32 s40, s39, 0
	s_cmp_gt_u32 s38, 14
	s_cselect_b32 s38, -1, 0
	s_cmp_eq_u32 s40, 0
	s_cselect_b32 s38, s38, -1
	s_add_i32 s40, s44, 1
	s_add_i32 s53, s44, 2
	s_cmp_lg_u32 s38, 0
	s_cselect_b32 s40, s53, s40
	v_readfirstlane_b32 s53, v38
	s_cmp_gt_u32 s53, 14
	s_cselect_b32 s53, -1, 0
	s_cmp_eq_u32 s39, 0
	s_cselect_b32 s53, s53, -1
	s_cmp_lg_u32 s53, 0
	s_mul_hi_u32 s45, s8, s60
	s_cselect_b32 s44, s40, s44
	s_mul_i32 s40, s8, s33
	s_mul_hi_u32 s53, s8, s33
	s_add_u32 s40, s45, s40
	s_mul_i32 s47, s9, s60
	s_addc_u32 s53, 0, s53
	s_mul_hi_u32 s46, s9, s60
	s_add_u32 s40, s40, s47
	s_mul_hi_u32 s45, s9, s33
	s_addc_u32 s46, s53, s46
	s_mul_i32 s40, s9, s33
	s_addc_u32 s45, s45, 0
	s_add_u32 s46, s46, s40
	s_addc_u32 s40, 0, s45
	s_mul_i32 s47, s46, 15
	s_mul_hi_u32 s45, s46, 15
	s_mul_i32 s40, s40, 15
	v_mov_b32_e32 v38, s47
	s_add_i32 s45, s45, s40
	v_sub_co_u32_e32 v38, vcc, s8, v38
	s_cmp_lg_u64 vcc, 0
	v_subrev_co_u32_e32 v39, vcc, 15, v38
	s_subb_u32 s40, s9, s45
	s_cmp_lg_u64 vcc, 0
	v_readfirstlane_b32 s45, v39
	s_subb_u32 s47, s40, 0
	s_cmp_gt_u32 s45, 14
	s_cselect_b32 s45, -1, 0
	s_cmp_eq_u32 s47, 0
	s_cselect_b32 s45, s45, -1
	s_add_i32 s47, s46, 1
	s_add_i32 s53, s46, 2
	s_cmp_lg_u32 s45, 0
	s_cselect_b32 s47, s53, s47
	v_readfirstlane_b32 s53, v38
	s_cmp_gt_u32 s53, 14
	s_cselect_b32 s53, -1, 0
	s_cmp_eq_u32 s40, 0
	s_cselect_b32 s53, s53, -1
	s_cmp_lg_u32 s53, 0
	s_mul_hi_u32 s48, s10, s60
	s_cselect_b32 s53, s47, s46
	;; [unrolled: 41-line block ×5, first 2 shown]
	s_mul_i32 s75, s16, s33
	s_mul_hi_u32 s76, s16, s33
	s_add_u32 s74, s74, s75
	s_mul_i32 s73, s17, s60
	s_addc_u32 s76, 0, s76
	s_mul_hi_u32 s57, s17, s60
	s_add_u32 s73, s74, s73
	s_mul_hi_u32 s75, s17, s33
	s_addc_u32 s57, s76, s57
	s_mul_i32 s73, s17, s33
	s_addc_u32 s74, s75, 0
	s_add_u32 s73, s57, s73
	s_addc_u32 s57, 0, s74
	s_mul_i32 s75, s73, 15
	s_mul_hi_u32 s74, s73, 15
	s_mul_i32 s57, s57, 15
	v_mov_b32_e32 v38, s75
	s_add_i32 s74, s74, s57
	v_sub_co_u32_e32 v38, vcc, s16, v38
	s_cmp_lg_u64 vcc, 0
	v_subrev_co_u32_e32 v39, vcc, 15, v38
	s_subb_u32 s74, s17, s74
	s_cmp_lg_u64 vcc, 0
	v_readfirstlane_b32 s57, v39
	s_subb_u32 s75, s74, 0
	s_cmp_gt_u32 s57, 14
	s_cselect_b32 s57, -1, 0
	s_cmp_eq_u32 s75, 0
	s_cselect_b32 s57, s57, -1
	s_add_i32 s75, s73, 1
	s_add_i32 s76, s73, 2
	s_cmp_lg_u32 s57, 0
	s_cselect_b32 s75, s76, s75
	v_readfirstlane_b32 s76, v38
	s_cmp_gt_u32 s76, 14
	s_cselect_b32 s76, -1, 0
	s_cmp_eq_u32 s74, 0
	s_cselect_b32 s76, s76, -1
	s_mul_hi_u32 s72, s18, s60
	s_cmp_lg_u32 s76, 0
	s_mul_i32 s76, s18, s33
	s_mul_hi_u32 s74, s18, s33
	s_cselect_b32 s73, s75, s73
	s_add_u32 s72, s72, s76
	s_mul_i32 s71, s19, s60
	s_addc_u32 s74, 0, s74
	s_mul_hi_u32 s70, s19, s60
	s_add_u32 s71, s72, s71
	s_mul_hi_u32 s75, s19, s33
	s_addc_u32 s70, s74, s70
	s_mul_i32 s76, s19, s33
	s_addc_u32 s72, s75, 0
	s_add_u32 s70, s70, s76
	s_addc_u32 s72, 0, s72
	s_mul_i32 s75, s70, 15
	s_mul_hi_u32 s74, s70, 15
	s_mul_i32 s72, s72, 15
	v_mov_b32_e32 v38, s75
	s_add_i32 s74, s74, s72
	v_sub_co_u32_e32 v38, vcc, s18, v38
	s_cmp_lg_u64 vcc, 0
	v_subrev_co_u32_e32 v39, vcc, 15, v38
	s_subb_u32 s72, s19, s74
	s_cmp_lg_u64 vcc, 0
	v_readfirstlane_b32 s74, v39
	s_subb_u32 s75, s72, 0
	s_cmp_gt_u32 s74, 14
	s_cselect_b32 s74, -1, 0
	s_cmp_eq_u32 s75, 0
	s_cselect_b32 s74, s74, -1
	s_add_i32 s75, s70, 1
	s_add_i32 s76, s70, 2
	s_cmp_lg_u32 s74, 0
	s_cselect_b32 s75, s76, s75
	v_readfirstlane_b32 s76, v38
	s_cmp_gt_u32 s76, 14
	s_cselect_b32 s76, -1, 0
	s_cmp_eq_u32 s72, 0
	s_cselect_b32 s76, s76, -1
	s_mul_hi_u32 s68, s20, s60
	s_mul_i32 s74, s20, s33
	s_cmp_lg_u32 s76, 0
	s_mul_hi_u32 s71, s20, s33
	s_cselect_b32 s70, s75, s70
	s_add_u32 s68, s68, s74
	s_mul_i32 s67, s21, s60
	s_addc_u32 s71, 0, s71
	s_mul_hi_u32 s66, s21, s60
	s_add_u32 s67, s68, s67
	s_mul_hi_u32 s72, s21, s33
	s_addc_u32 s66, s71, s66
	s_mul_i32 s76, s21, s33
	s_addc_u32 s68, s72, 0
	s_add_u32 s66, s66, s76
	s_addc_u32 s68, 0, s68
	s_mul_i32 s72, s66, 15
	s_mul_hi_u32 s71, s66, 15
	s_mul_i32 s68, s68, 15
	v_mov_b32_e32 v38, s72
	s_add_i32 s71, s71, s68
	v_sub_co_u32_e32 v38, vcc, s20, v38
	s_cmp_lg_u64 vcc, 0
	v_subrev_co_u32_e32 v39, vcc, 15, v38
	s_subb_u32 s68, s21, s71
	s_cmp_lg_u64 vcc, 0
	v_readfirstlane_b32 s71, v39
	s_subb_u32 s72, s68, 0
	s_cmp_gt_u32 s71, 14
	s_cselect_b32 s71, -1, 0
	s_cmp_eq_u32 s72, 0
	s_cselect_b32 s71, s71, -1
	s_add_i32 s72, s66, 1
	s_add_i32 s76, s66, 2
	s_cmp_lg_u32 s71, 0
	s_cselect_b32 s72, s76, s72
	v_readfirstlane_b32 s76, v38
	s_cmp_gt_u32 s76, 14
	s_cselect_b32 s76, -1, 0
	s_cmp_eq_u32 s68, 0
	s_cselect_b32 s76, s76, -1
	s_mul_hi_u32 s64, s22, s60
	s_mul_i32 s74, s22, s33
	s_cmp_lg_u32 s76, 0
	;; [unrolled: 41-line block ×6, first 2 shown]
	s_mul_hi_u32 s59, s30, s33
	s_cselect_b32 s41, s68, s41
	s_add_u32 s38, s38, s74
	s_mul_i32 s45, s31, s60
	s_addc_u32 s59, 0, s59
	s_mul_hi_u32 s39, s31, s60
	s_add_u32 s38, s38, s45
	s_mul_hi_u32 s72, s31, s33
	s_addc_u32 s38, s59, s39
	s_mul_i32 s67, s31, s33
	s_addc_u32 s39, s72, 0
	s_add_u32 s38, s38, s67
	s_addc_u32 s39, 0, s39
	s_mul_i32 s59, s38, 15
	s_mul_hi_u32 s45, s38, 15
	s_mul_i32 s39, s39, 15
	v_mov_b32_e32 v38, s59
	s_add_i32 s45, s45, s39
	v_sub_co_u32_e32 v38, vcc, s30, v38
	s_cmp_lg_u64 vcc, 0
	v_subrev_co_u32_e32 v39, vcc, 15, v38
	s_subb_u32 s45, s31, s45
	s_cmp_lg_u64 vcc, 0
	v_readfirstlane_b32 s59, v39
	s_subb_u32 s67, s45, 0
	s_cmp_gt_u32 s59, 14
	s_cselect_b32 s59, -1, 0
	s_cmp_eq_u32 s67, 0
	s_cselect_b32 s59, s59, -1
	s_add_i32 s67, s38, 1
	s_add_i32 s72, s38, 2
	v_readfirstlane_b32 s39, v38
	s_cmp_lg_u32 s59, 0
	s_cselect_b32 s59, s72, s67
	s_cmp_gt_u32 s39, 14
	s_cselect_b32 s39, -1, 0
	s_cmp_eq_u32 s45, 0
	s_cselect_b32 s39, s39, -1
	s_mul_hi_u32 s40, s34, s60
	s_mul_i32 s63, s34, s33
	s_cmp_lg_u32 s39, 0
	s_mul_hi_u32 s51, s34, s33
	s_cselect_b32 s38, s59, s38
	s_add_u32 s39, s40, s63
	s_mul_i32 s47, s35, s60
	s_addc_u32 s40, 0, s51
	s_mul_hi_u32 s46, s35, s60
	s_add_u32 s39, s39, s47
	s_mul_hi_u32 s52, s35, s33
	s_addc_u32 s39, s40, s46
	s_mul_i32 s75, s35, s33
	s_addc_u32 s40, s52, 0
	s_add_u32 s39, s39, s75
	s_addc_u32 s40, 0, s40
	s_mul_i32 s46, s39, 15
	s_mul_hi_u32 s45, s39, 15
	s_mul_i32 s40, s40, 15
	v_mov_b32_e32 v38, s46
	s_add_i32 s45, s45, s40
	v_sub_co_u32_e32 v38, vcc, s34, v38
	s_cmp_lg_u64 vcc, 0
	v_subrev_co_u32_e32 v39, vcc, 15, v38
	s_subb_u32 s45, s35, s45
	s_cmp_lg_u64 vcc, 0
	v_readfirstlane_b32 s46, v39
	s_subb_u32 s47, s45, 0
	s_cmp_gt_u32 s46, 14
	s_cselect_b32 s46, -1, 0
	s_cmp_eq_u32 s47, 0
	s_cselect_b32 s46, s46, -1
	s_add_i32 s47, s39, 1
	s_add_i32 s51, s39, 2
	v_readfirstlane_b32 s40, v38
	s_cmp_lg_u32 s46, 0
	s_cselect_b32 s46, s51, s47
	s_cmp_gt_u32 s40, 14
	s_cselect_b32 s40, -1, 0
	s_cmp_eq_u32 s45, 0
	s_cselect_b32 s40, s40, -1
	s_mul_hi_u32 s48, s36, s60
	s_mul_i32 s76, s36, s33
	s_cmp_lg_u32 s40, 0
	;; [unrolled: 41-line block ×3, first 2 shown]
	s_mul_hi_u32 s43, s6, s33
	s_cselect_b32 s40, s46, s40
	s_add_u32 s42, s54, s71
	s_mul_hi_u32 s57, s7, s60
	s_mul_i32 s60, s7, s60
	s_addc_u32 s43, 0, s43
	s_add_u32 s42, s42, s60
	s_mul_hi_u32 s68, s7, s33
	s_addc_u32 s42, s43, s57
	s_mul_i32 s33, s7, s33
	s_addc_u32 s43, s68, 0
	s_add_u32 s33, s42, s33
	s_addc_u32 s42, 0, s43
	s_mul_i32 s45, s33, 15
	s_mul_hi_u32 s43, s33, 15
	s_mul_i32 s42, s42, 15
	v_mov_b32_e32 v38, s45
	s_add_i32 s43, s43, s42
	v_sub_co_u32_e32 v38, vcc, s6, v38
	s_cmp_lg_u64 vcc, 0
	v_subrev_co_u32_e32 v39, vcc, 15, v38
	s_subb_u32 s43, s7, s43
	s_cmp_lg_u64 vcc, 0
	v_readfirstlane_b32 s45, v39
	s_subb_u32 s46, s43, 0
	s_cmp_gt_u32 s45, 14
	s_cselect_b32 s45, -1, 0
	s_cmp_eq_u32 s46, 0
	s_cselect_b32 s45, s45, -1
	s_add_i32 s46, s33, 1
	s_add_i32 s47, s33, 2
	v_readfirstlane_b32 s42, v38
	s_cmp_lg_u32 s45, 0
	s_cselect_b32 s45, s47, s46
	s_cmp_gt_u32 s42, 14
	s_cselect_b32 s42, -1, 0
	s_cmp_eq_u32 s43, 0
	s_cselect_b32 s42, s42, -1
	s_cmp_lg_u32 s42, 0
	s_mul_i32 s44, s44, 15
	s_cselect_b32 s33, s45, s33
	s_sub_i32 s42, s6, s44
	s_mul_i32 s33, s33, -15
	s_add_i32 s42, s42, 1
	s_add_i32 s33, s6, s33
	s_mul_i32 s53, s53, 15
	s_mul_i32 s61, s61, 15
	;; [unrolled: 1-line block ×14, first 2 shown]
	s_waitcnt vmcnt(0)
	s_set_gpr_idx_on s33, gpr_idx(DST)
	v_mov_b32_e32 v0, v36
	s_set_gpr_idx_off
	s_add_u32 s4, s4, 1
	s_set_gpr_idx_on s42, gpr_idx(SRC0)
	v_mov_b32_e32 v36, v0
	s_set_gpr_idx_off
	s_addc_u32 s5, s5, 0
	s_sub_i32 s33, s6, s40
	s_sub_i32 s39, s6, s39
	;; [unrolled: 1-line block ×14, first 2 shown]
	s_add_i32 s33, s33, 2
	s_add_i32 s39, s39, 3
	;; [unrolled: 1-line block ×14, first 2 shown]
	s_add_u32 s6, s6, 1
	s_addc_u32 s7, s7, 0
	s_add_u32 s8, s8, 1
	s_addc_u32 s9, s9, 0
	s_add_u32 s10, s10, 1
	s_addc_u32 s11, s11, 0
	s_add_u32 s12, s12, 1
	s_addc_u32 s13, s13, 0
	s_add_u32 s14, s14, 1
	s_addc_u32 s15, s15, 0
	s_add_u32 s16, s16, 1
	s_addc_u32 s17, s17, 0
	s_add_u32 s18, s18, 1
	v_fma_f32 v36, v16, v36, 0
	s_set_gpr_idx_on s33, gpr_idx(SRC0)
	v_mov_b32_e32 v38, v0
	s_set_gpr_idx_off
	s_addc_u32 s19, s19, 0
	v_fmac_f32_e32 v36, v17, v38
	s_set_gpr_idx_on s39, gpr_idx(SRC0)
	v_mov_b32_e32 v38, v0
	s_set_gpr_idx_off
	s_add_u32 s20, s20, 1
	v_fmac_f32_e32 v36, v18, v38
	s_set_gpr_idx_on s38, gpr_idx(SRC0)
	v_mov_b32_e32 v38, v0
	s_set_gpr_idx_off
	s_addc_u32 s21, s21, 0
	v_fmac_f32_e32 v36, v19, v38
	s_set_gpr_idx_on s40, gpr_idx(SRC0)
	v_mov_b32_e32 v38, v0
	s_set_gpr_idx_off
	s_add_u32 s22, s22, 1
	v_fmac_f32_e32 v36, v20, v38
	;; [unrolled: 10-line block ×7, first 2 shown]
	s_addc_u32 s35, s35, 0
	v_add_f32_e32 v36, v31, v36
	s_add_u32 s36, s36, 1
	v_mov_b32_e32 v37, s3
	global_store_dword v[34:35], v36, off
	v_add_co_u32_e32 v34, vcc, s2, v34
	s_addc_u32 s37, s37, 0
	s_cmp_eq_u64 s[0:1], s[6:7]
	v_addc_co_u32_e32 v35, vcc, v35, v37, vcc
	s_cbranch_scc0 .LBB18_5
.LBB18_6:
	s_endpgm
	.section	.rodata,"a",@progbits
	.p2align	6, 0x0
	.amdhsa_kernel _ZL12ssm_conv_f32ILb0ELm128ELm15EEvPKfS1_S1_iiiiPfiiil
		.amdhsa_group_segment_fixed_size 0
		.amdhsa_private_segment_fixed_size 0
		.amdhsa_kernarg_size 72
		.amdhsa_user_sgpr_count 6
		.amdhsa_user_sgpr_private_segment_buffer 1
		.amdhsa_user_sgpr_dispatch_ptr 0
		.amdhsa_user_sgpr_queue_ptr 0
		.amdhsa_user_sgpr_kernarg_segment_ptr 1
		.amdhsa_user_sgpr_dispatch_id 0
		.amdhsa_user_sgpr_flat_scratch_init 0
		.amdhsa_user_sgpr_kernarg_preload_length 0
		.amdhsa_user_sgpr_kernarg_preload_offset 0
		.amdhsa_user_sgpr_private_segment_size 0
		.amdhsa_uses_dynamic_stack 0
		.amdhsa_system_sgpr_private_segment_wavefront_offset 0
		.amdhsa_system_sgpr_workgroup_id_x 1
		.amdhsa_system_sgpr_workgroup_id_y 1
		.amdhsa_system_sgpr_workgroup_id_z 0
		.amdhsa_system_sgpr_workgroup_info 0
		.amdhsa_system_vgpr_workitem_id 0
		.amdhsa_next_free_vgpr 40
		.amdhsa_next_free_sgpr 78
		.amdhsa_accum_offset 40
		.amdhsa_reserve_vcc 1
		.amdhsa_reserve_flat_scratch 0
		.amdhsa_float_round_mode_32 0
		.amdhsa_float_round_mode_16_64 0
		.amdhsa_float_denorm_mode_32 3
		.amdhsa_float_denorm_mode_16_64 3
		.amdhsa_dx10_clamp 1
		.amdhsa_ieee_mode 1
		.amdhsa_fp16_overflow 0
		.amdhsa_tg_split 0
		.amdhsa_exception_fp_ieee_invalid_op 0
		.amdhsa_exception_fp_denorm_src 0
		.amdhsa_exception_fp_ieee_div_zero 0
		.amdhsa_exception_fp_ieee_overflow 0
		.amdhsa_exception_fp_ieee_underflow 0
		.amdhsa_exception_fp_ieee_inexact 0
		.amdhsa_exception_int_div_zero 0
	.end_amdhsa_kernel
	.section	.text._ZL12ssm_conv_f32ILb0ELm128ELm15EEvPKfS1_S1_iiiiPfiiil,"axG",@progbits,_ZL12ssm_conv_f32ILb0ELm128ELm15EEvPKfS1_S1_iiiiPfiiil,comdat
.Lfunc_end18:
	.size	_ZL12ssm_conv_f32ILb0ELm128ELm15EEvPKfS1_S1_iiiiPfiiil, .Lfunc_end18-_ZL12ssm_conv_f32ILb0ELm128ELm15EEvPKfS1_S1_iiiiPfiiil
                                        ; -- End function
	.section	.AMDGPU.csdata,"",@progbits
; Kernel info:
; codeLenInByte = 4080
; NumSgprs: 82
; NumVgprs: 40
; NumAgprs: 0
; TotalNumVgprs: 40
; ScratchSize: 0
; MemoryBound: 0
; FloatMode: 240
; IeeeMode: 1
; LDSByteSize: 0 bytes/workgroup (compile time only)
; SGPRBlocks: 10
; VGPRBlocks: 4
; NumSGPRsForWavesPerEU: 82
; NumVGPRsForWavesPerEU: 40
; AccumOffset: 40
; Occupancy: 8
; WaveLimiterHint : 0
; COMPUTE_PGM_RSRC2:SCRATCH_EN: 0
; COMPUTE_PGM_RSRC2:USER_SGPR: 6
; COMPUTE_PGM_RSRC2:TRAP_HANDLER: 0
; COMPUTE_PGM_RSRC2:TGID_X_EN: 1
; COMPUTE_PGM_RSRC2:TGID_Y_EN: 1
; COMPUTE_PGM_RSRC2:TGID_Z_EN: 0
; COMPUTE_PGM_RSRC2:TIDIG_COMP_CNT: 0
; COMPUTE_PGM_RSRC3_GFX90A:ACCUM_OFFSET: 9
; COMPUTE_PGM_RSRC3_GFX90A:TG_SPLIT: 0
	.section	.text._ZL23ssm_conv_long_token_f32ILb0ELm128ELm15ELl32EEvPKfS1_S1_iiiiPfiiil,"axG",@progbits,_ZL23ssm_conv_long_token_f32ILb0ELm128ELm15ELl32EEvPKfS1_S1_iiiiPfiiil,comdat
	.globl	_ZL23ssm_conv_long_token_f32ILb0ELm128ELm15ELl32EEvPKfS1_S1_iiiiPfiiil ; -- Begin function _ZL23ssm_conv_long_token_f32ILb0ELm128ELm15ELl32EEvPKfS1_S1_iiiiPfiiil
	.p2align	8
	.type	_ZL23ssm_conv_long_token_f32ILb0ELm128ELm15ELl32EEvPKfS1_S1_iiiiPfiiil,@function
_ZL23ssm_conv_long_token_f32ILb0ELm128ELm15ELl32EEvPKfS1_S1_iiiiPfiiil: ; @_ZL23ssm_conv_long_token_f32ILb0ELm128ELm15ELl32EEvPKfS1_S1_iiiiPfiiil
; %bb.0:
	s_load_dwordx4 s[0:3], s[4:5], 0x18
	s_load_dwordx2 s[12:13], s[4:5], 0x0
	s_mov_b32 s10, s7
	v_mov_b32_e32 v1, s10
	s_waitcnt lgkmcnt(0)
	s_mul_i32 s2, s6, s2
	s_ashr_i32 s7, s2, 31
	s_add_u32 s2, s12, s2
	s_addc_u32 s7, s13, s7
	s_ashr_i32 s11, s10, 31
	s_lshl_b64 s[12:13], s[10:11], 7
	s_ashr_i32 s9, s1, 31
	s_mul_i32 s9, s12, s9
	s_mul_hi_u32 s10, s12, s1
	v_alignbit_b32 v1, s11, v1, 25
	s_add_i32 s10, s10, s9
	s_mul_i32 s9, s12, s1
	v_mul_lo_u32 v1, v1, s1
	v_mov_b32_e32 v2, s9
	v_add_u32_e32 v1, s10, v1
	v_mov_b32_e32 v3, s7
	v_add_co_u32_e32 v2, vcc, s2, v2
	s_ashr_i32 s9, s8, 31
	v_addc_co_u32_e32 v3, vcc, v3, v1, vcc
	s_lshl_b64 s[14:15], s[8:9], 5
	s_ashr_i32 s2, s0, 31
	v_mov_b32_e32 v1, s8
	v_alignbit_b32 v1, s9, v1, 27
	s_mul_i32 s2, s14, s2
	s_mul_hi_u32 s7, s14, s0
	v_mul_lo_u32 v1, v1, s0
	s_add_i32 s7, s7, s2
	s_mul_i32 s0, s14, s0
	v_add_u32_e32 v4, s7, v1
	v_add_co_u32_e32 v1, vcc, s0, v2
	v_mul_u32_u24_e32 v2, 0x591, v0
	v_lshrrev_b32_e32 v5, 16, v2
	v_mul_lo_u16_e32 v2, 46, v5
	v_addc_co_u32_e32 v3, vcc, v3, v4, vcc
	s_ashr_i32 s2, s1, 2
	v_sub_u16_e32 v4, v0, v2
	v_mad_u64_u32 v[6:7], s[0:1], s2, v5, v[4:5]
	v_ashrrev_i32_e32 v7, 31, v6
	v_lshlrev_b64 v[6:7], 2, v[6:7]
	v_or_b32_e32 v2, 0xffffff80, v4
	v_add_co_u32_e32 v8, vcc, v1, v6
	v_lshrrev_b16_e32 v6, 1, v2
	v_and_b32_e32 v6, 0x7f, v6
	v_mul_lo_u16_e32 v6, 0xb3, v6
	v_lshrrev_b16_e32 v6, 12, v6
	v_add_u32_e32 v15, v5, v6
	v_mul_lo_u16_e32 v6, 46, v6
	v_sub_u16_e32 v12, v2, v6
	v_and_b32_e32 v2, 0xff, v12
	v_addc_co_u32_e32 v9, vcc, v3, v7, vcc
	v_mad_u64_u32 v[6:7], s[0:1], v15, s2, v[2:3]
	v_ashrrev_i32_e32 v7, 31, v6
	v_lshlrev_b64 v[6:7], 2, v[6:7]
	v_add_co_u32_e32 v10, vcc, v1, v6
	v_or_b32_e32 v6, 0xffffff80, v12
	v_addc_co_u32_e32 v11, vcc, v3, v7, vcc
	v_lshrrev_b16_e32 v7, 1, v6
	v_and_b32_e32 v7, 0x7f, v7
	v_mul_lo_u16_e32 v7, 0xb3, v7
	v_lshrrev_b16_e32 v7, 12, v7
	v_add_u32_e32 v19, v15, v7
	v_mul_lo_u16_e32 v7, 46, v7
	v_sub_u16_e32 v7, v6, v7
	v_and_b32_e32 v6, 0xff, v7
	v_mad_u64_u32 v[12:13], s[0:1], v19, s2, v[6:7]
	v_or_b32_e32 v7, 0xffffff80, v7
	v_lshrrev_b16_e32 v14, 1, v7
	v_and_b32_e32 v14, 0x7f, v14
	v_mul_lo_u16_e32 v14, 0xb3, v14
	v_lshrrev_b16_e32 v14, 12, v14
	v_add_u32_e32 v22, v19, v14
	v_mul_lo_u16_e32 v14, 46, v14
	v_sub_u16_e32 v7, v7, v14
	v_and_b32_e32 v14, 0xff, v7
	v_or_b32_e32 v7, 0xffffff80, v7
	v_lshrrev_b16_e32 v18, 1, v7
	v_and_b32_e32 v18, 0x7f, v18
	v_mul_lo_u16_e32 v18, 0xb3, v18
	v_lshrrev_b16_e32 v18, 12, v18
	v_ashrrev_i32_e32 v13, 31, v12
	v_add_u32_e32 v23, v22, v18
	v_mul_lo_u16_e32 v18, 46, v18
	v_lshlrev_b64 v[12:13], 2, v[12:13]
	v_mad_u64_u32 v[16:17], s[0:1], v22, s2, v[14:15]
	v_sub_u16_e32 v7, v7, v18
	v_add_co_u32_e32 v12, vcc, v1, v12
	v_ashrrev_i32_e32 v17, 31, v16
	v_and_b32_e32 v18, 0xff, v7
	v_addc_co_u32_e32 v13, vcc, v3, v13, vcc
	v_lshlrev_b64 v[16:17], 2, v[16:17]
	v_mad_u64_u32 v[20:21], s[0:1], v23, s2, v[18:19]
	v_add_co_u32_e32 v16, vcc, v1, v16
	v_ashrrev_i32_e32 v21, 31, v20
	v_addc_co_u32_e32 v17, vcc, v3, v17, vcc
	v_lshlrev_b64 v[20:21], 2, v[20:21]
	v_add_co_u32_e32 v20, vcc, v1, v20
	v_or_b32_e32 v7, 0xffffff80, v7
	v_addc_co_u32_e32 v21, vcc, v3, v21, vcc
	global_load_dword v24, v[8:9], off
	global_load_dword v25, v[10:11], off
	;; [unrolled: 1-line block ×5, first 2 shown]
	v_lshrrev_b16_e32 v8, 1, v7
	v_and_b32_e32 v8, 0x7f, v8
	v_mul_lo_u16_e32 v8, 0xb3, v8
	v_lshrrev_b16_e32 v8, 12, v8
	v_add_u32_e32 v9, v23, v8
	v_mul_lo_u16_e32 v8, 46, v8
	v_sub_u16_e32 v7, v7, v8
	v_and_b32_e32 v8, 0xff, v7
	v_mad_u64_u32 v[10:11], s[0:1], v9, s2, v[8:9]
	v_ashrrev_i32_e32 v11, 31, v10
	v_lshlrev_b64 v[10:11], 2, v[10:11]
	v_add_co_u32_e32 v10, vcc, v1, v10
	v_addc_co_u32_e32 v11, vcc, v3, v11, vcc
	global_load_dword v11, v[10:11], off
	v_mad_u32_u24 v4, v5, 46, v4
	v_lshl_add_u32 v20, v4, 2, 0
	v_or_b32_e32 v4, 0xffffff80, v7
	v_lshrrev_b16_e32 v5, 1, v4
	v_and_b32_e32 v5, 0x7f, v5
	v_mul_lo_u16_e32 v5, 0xb3, v5
	v_lshrrev_b16_e32 v5, 12, v5
	v_add_u32_e32 v7, v9, v5
	v_mul_lo_u16_e32 v5, 46, v5
	v_sub_u16_e32 v16, v4, v5
	v_and_b32_e32 v10, 0xff, v16
	v_mad_u32_u24 v2, v15, 46, v2
	v_lshl_add_u32 v2, v2, 2, 0
	s_movk_i32 s7, 0x80
	s_waitcnt vmcnt(0)
	v_mad_u64_u32 v[4:5], s[0:1], v7, s2, v[10:11]
	v_ashrrev_i32_e32 v5, 31, v4
	v_lshlrev_b64 v[4:5], 2, v[4:5]
	v_add_co_u32_e32 v12, vcc, v1, v4
	v_or_b32_e32 v4, 0xffffff80, v16
	v_addc_co_u32_e32 v13, vcc, v3, v5, vcc
	v_lshrrev_b16_e32 v5, 1, v4
	v_and_b32_e32 v5, 0x7f, v5
	v_mul_lo_u16_e32 v5, 0xb3, v5
	v_lshrrev_b16_e32 v5, 12, v5
	v_add_u32_e32 v29, v7, v5
	v_mul_lo_u16_e32 v5, 46, v5
	v_sub_u16_e32 v5, v4, v5
	v_and_b32_e32 v4, 0xff, v5
	v_mad_u64_u32 v[16:17], s[0:1], v29, s2, v[4:5]
	v_ashrrev_i32_e32 v17, 31, v16
	v_lshlrev_b64 v[16:17], 2, v[16:17]
	v_add_co_u32_e32 v16, vcc, v1, v16
	v_addc_co_u32_e32 v17, vcc, v3, v17, vcc
	global_load_dword v30, v[12:13], off
	global_load_dword v31, v[16:17], off
	ds_write_b32 v20, v24
	ds_write_b32 v2, v25
	v_mad_u32_u24 v2, v19, 46, v6
	v_lshl_add_u32 v2, v2, 2, 0
	ds_write_b32 v2, v26
	v_mad_u32_u24 v2, v22, 46, v14
	v_lshl_add_u32 v2, v2, 2, 0
	;; [unrolled: 3-line block ×4, first 2 shown]
	ds_write_b32 v2, v11
	v_or_b32_e32 v2, 0xffffff80, v5
	v_lshrrev_b16_e32 v5, 1, v2
	v_and_b32_e32 v5, 0x7f, v5
	v_mul_lo_u16_e32 v5, 0xb3, v5
	v_mad_u64_u32 v[6:7], s[0:1], v7, 46, v[10:11]
	v_lshrrev_b16_e32 v5, 12, v5
	v_add_u32_e32 v7, v29, v5
	v_mul_lo_u16_e32 v5, 46, v5
	v_sub_u16_e32 v5, v2, v5
	v_and_b32_e32 v2, 0xff, v5
	v_mad_u64_u32 v[8:9], s[0:1], v7, s2, v[2:3]
	v_ashrrev_i32_e32 v9, 31, v8
	v_lshlrev_b64 v[8:9], 2, v[8:9]
	v_or_b32_e32 v5, 0xffffff80, v5
	v_add_co_u32_e32 v14, vcc, v1, v8
	v_lshrrev_b16_e32 v8, 1, v5
	v_and_b32_e32 v8, 0x7f, v8
	v_mul_lo_u16_e32 v8, 0xb3, v8
	v_lshrrev_b16_e32 v8, 12, v8
	v_add_u32_e32 v24, v7, v8
	v_mul_lo_u16_e32 v8, 46, v8
	v_sub_u16_e32 v5, v5, v8
	v_and_b32_e32 v8, 0xff, v5
	v_or_b32_e32 v5, 0xffffff80, v5
	v_addc_co_u32_e32 v15, vcc, v3, v9, vcc
	v_mad_u64_u32 v[10:11], s[0:1], v24, s2, v[8:9]
	v_lshrrev_b16_e32 v9, 1, v5
	v_and_b32_e32 v9, 0x7f, v9
	v_mul_lo_u16_e32 v9, 0xb3, v9
	v_lshrrev_b16_e32 v9, 12, v9
	v_ashrrev_i32_e32 v11, 31, v10
	v_add_u32_e32 v25, v24, v9
	v_mul_lo_u16_e32 v9, 46, v9
	v_lshlrev_b64 v[10:11], 2, v[10:11]
	v_sub_u16_e32 v5, v5, v9
	v_add_co_u32_e32 v16, vcc, v1, v10
	v_and_b32_e32 v10, 0xff, v5
	v_or_b32_e32 v5, 0xffffff80, v5
	v_mad_u64_u32 v[12:13], s[0:1], v25, s2, v[10:11]
	v_lshrrev_b16_e32 v9, 1, v5
	v_ashrrev_i32_e32 v13, 31, v12
	v_and_b32_e32 v9, 0x7f, v9
	v_addc_co_u32_e32 v17, vcc, v3, v11, vcc
	v_lshlrev_b64 v[12:13], 2, v[12:13]
	v_mul_lo_u16_e32 v9, 0xb3, v9
	v_add_co_u32_e32 v18, vcc, v1, v12
	v_lshrrev_b16_e32 v9, 12, v9
	v_addc_co_u32_e32 v19, vcc, v3, v13, vcc
	v_add_u32_e32 v13, v25, v9
	v_mul_lo_u16_e32 v9, 46, v9
	v_sub_u16_e32 v5, v5, v9
	v_and_b32_e32 v12, 0xff, v5
	v_or_b32_e32 v5, 0xffffff80, v5
	v_lshrrev_b16_e32 v9, 1, v5
	v_and_b32_e32 v9, 0x7f, v9
	v_mad_u64_u32 v[20:21], s[0:1], v13, s2, v[12:13]
	v_mul_lo_u16_e32 v9, 0xb3, v9
	v_ashrrev_i32_e32 v21, 31, v20
	v_lshrrev_b16_e32 v9, 12, v9
	v_lshlrev_b64 v[20:21], 2, v[20:21]
	v_add_u32_e32 v33, v13, v9
	v_mul_lo_u16_e32 v9, 46, v9
	v_add_co_u32_e32 v20, vcc, v1, v20
	v_sub_u16_e32 v9, v5, v9
	v_lshl_add_u32 v5, v6, 2, 0
	v_addc_co_u32_e32 v21, vcc, v3, v21, vcc
	global_load_dword v26, v[14:15], off
	global_load_dword v27, v[16:17], off
	;; [unrolled: 1-line block ×4, first 2 shown]
	s_waitcnt vmcnt(5)
	ds_write_b32 v5, v30
	v_mad_u64_u32 v[4:5], s[0:1], v29, 46, v[4:5]
	v_lshl_add_u32 v4, v4, 2, 0
	s_waitcnt vmcnt(4)
	ds_write_b32 v4, v31
	v_mad_u64_u32 v[4:5], s[0:1], v7, 46, v[2:3]
	v_or_b32_e32 v2, 0xffffff80, v9
	v_lshl_add_u32 v29, v4, 2, 0
	v_lshrrev_b16_e32 v4, 1, v2
	v_and_b32_e32 v4, 0x7f, v4
	v_mul_lo_u16_e32 v4, 0xb3, v4
	v_lshrrev_b16_e32 v4, 12, v4
	v_and_b32_e32 v14, 0xff, v9
	v_add_u32_e32 v5, v33, v4
	v_mul_lo_u16_e32 v4, 46, v4
	v_mad_u64_u32 v[16:17], s[0:1], v33, s2, v[14:15]
	v_sub_u16_e32 v4, v2, v4
	v_ashrrev_i32_e32 v17, 31, v16
	v_and_b32_e32 v2, 0xff, v4
	v_lshlrev_b64 v[16:17], 2, v[16:17]
	v_mad_u64_u32 v[6:7], s[0:1], v5, s2, v[2:3]
	v_add_co_u32_e32 v16, vcc, v1, v16
	v_ashrrev_i32_e32 v7, 31, v6
	v_addc_co_u32_e32 v17, vcc, v3, v17, vcc
	v_lshlrev_b64 v[6:7], 2, v[6:7]
	v_or_b32_e32 v4, 0xffffff80, v4
	global_load_dword v34, v[16:17], off
	v_add_co_u32_e32 v16, vcc, v1, v6
	v_lshrrev_b16_e32 v6, 1, v4
	v_and_b32_e32 v6, 0x7f, v6
	v_mul_lo_u16_e32 v6, 0xb3, v6
	v_lshrrev_b16_e32 v6, 12, v6
	v_addc_co_u32_e32 v17, vcc, v3, v7, vcc
	v_add_u32_e32 v7, v5, v6
	v_mul_lo_u16_e32 v6, 46, v6
	v_sub_u16_e32 v6, v4, v6
	v_and_b32_e32 v4, 0xff, v6
	v_or_b32_e32 v6, 0xffffff80, v6
	v_lshrrev_b16_e32 v9, 1, v6
	v_and_b32_e32 v9, 0x7f, v9
	v_mul_lo_u16_e32 v9, 0xb3, v9
	v_mad_u64_u32 v[18:19], s[0:1], v7, s2, v[4:5]
	v_lshrrev_b16_e32 v11, 12, v9
	v_ashrrev_i32_e32 v19, 31, v18
	v_add_u32_e32 v9, v7, v11
	v_mul_lo_u16_e32 v11, 46, v11
	v_lshlrev_b64 v[18:19], 2, v[18:19]
	v_sub_u16_e32 v30, v6, v11
	v_add_co_u32_e32 v20, vcc, v1, v18
	v_and_b32_e32 v6, 0xff, v30
	v_addc_co_u32_e32 v21, vcc, v3, v19, vcc
	v_mad_u64_u32 v[18:19], s[0:1], v9, s2, v[6:7]
	v_ashrrev_i32_e32 v19, 31, v18
	v_lshlrev_b64 v[18:19], 2, v[18:19]
	v_add_co_u32_e32 v22, vcc, v1, v18
	v_addc_co_u32_e32 v23, vcc, v3, v19, vcc
	global_load_dword v19, v[16:17], off
	global_load_dword v11, v[20:21], off
	;; [unrolled: 1-line block ×3, first 2 shown]
	v_mad_u64_u32 v[16:17], s[0:1], v24, 46, v[8:9]
	v_lshl_add_u32 v8, v16, 2, 0
	v_mad_u64_u32 v[12:13], s[0:1], v13, 46, v[12:13]
	s_waitcnt vmcnt(7)
	ds_write_b32 v29, v26
	s_waitcnt vmcnt(6)
	ds_write_b32 v8, v27
	s_waitcnt vmcnt(1)
	v_mad_u64_u32 v[16:17], s[0:1], v25, 46, v[10:11]
	v_lshl_add_u32 v8, v16, 2, 0
	ds_write_b32 v8, v28
	v_lshl_add_u32 v8, v12, 2, 0
	s_waitcnt vmcnt(0)
	v_mad_u64_u32 v[12:13], s[0:1], v33, 46, v[14:15]
	ds_write_b32 v8, v32
	v_lshl_add_u32 v8, v12, 2, 0
	ds_write_b32 v8, v34
	v_or_b32_e32 v8, 0xffffff80, v30
	v_lshrrev_b16_e32 v10, 1, v8
	v_and_b32_e32 v10, 0x7f, v10
	v_mul_lo_u16_e32 v10, 0xb3, v10
	v_lshrrev_b16_e32 v10, 12, v10
	v_add_u32_e32 v23, v9, v10
	v_mul_lo_u16_e32 v10, 46, v10
	v_sub_u16_e32 v10, v8, v10
	v_and_b32_e32 v8, 0xff, v10
	v_or_b32_e32 v10, 0xffffff80, v10
	v_lshrrev_b16_e32 v14, 1, v10
	v_and_b32_e32 v14, 0x7f, v14
	v_mul_lo_u16_e32 v14, 0xb3, v14
	v_lshrrev_b16_e32 v14, 12, v14
	v_add_u32_e32 v25, v23, v14
	v_mul_lo_u16_e32 v14, 46, v14
	v_sub_u16_e32 v14, v10, v14
	v_and_b32_e32 v10, 0xff, v14
	;; [unrolled: 9-line block ×3, first 2 shown]
	v_or_b32_e32 v18, 0xffffff80, v18
	v_lshrrev_b16_e32 v22, 1, v18
	v_and_b32_e32 v22, 0x7f, v22
	v_mul_lo_u16_e32 v22, 0xb3, v22
	v_lshrrev_b16_e32 v22, 12, v22
	v_add_u32_e32 v45, v41, v22
	v_mul_lo_u16_e32 v22, 46, v22
	v_sub_u16_e32 v22, v18, v22
	v_mad_u64_u32 v[12:13], s[0:1], v23, s2, v[8:9]
	v_and_b32_e32 v18, 0xff, v22
	v_or_b32_e32 v22, 0xffffff80, v22
	v_ashrrev_i32_e32 v13, 31, v12
	v_lshrrev_b16_e32 v24, 1, v22
	v_lshlrev_b64 v[12:13], 2, v[12:13]
	v_mad_u64_u32 v[16:17], s[0:1], v25, s2, v[10:11]
	v_and_b32_e32 v24, 0x7f, v24
	v_add_co_u32_e32 v12, vcc, v1, v12
	v_ashrrev_i32_e32 v17, 31, v16
	v_mul_lo_u16_e32 v24, 0xb3, v24
	v_addc_co_u32_e32 v13, vcc, v3, v13, vcc
	v_lshlrev_b64 v[16:17], 2, v[16:17]
	v_mad_u64_u32 v[20:21], s[0:1], v41, s2, v[14:15]
	v_lshrrev_b16_e32 v24, 12, v24
	v_add_co_u32_e32 v16, vcc, v1, v16
	v_ashrrev_i32_e32 v21, 31, v20
	v_add_u32_e32 v49, v45, v24
	v_mul_lo_u16_e32 v24, 46, v24
	v_addc_co_u32_e32 v17, vcc, v3, v17, vcc
	v_lshlrev_b64 v[20:21], 2, v[20:21]
	v_mad_u64_u32 v[26:27], s[0:1], v45, s2, v[18:19]
	v_sub_u16_e32 v24, v22, v24
	v_add_co_u32_e32 v20, vcc, v1, v20
	v_ashrrev_i32_e32 v27, 31, v26
	v_and_b32_e32 v22, 0xff, v24
	v_addc_co_u32_e32 v21, vcc, v3, v21, vcc
	v_lshlrev_b64 v[26:27], 2, v[26:27]
	v_mad_u64_u32 v[28:29], s[0:1], v49, s2, v[22:23]
	v_add_co_u32_e32 v26, vcc, v1, v26
	v_ashrrev_i32_e32 v29, 31, v28
	v_addc_co_u32_e32 v27, vcc, v3, v27, vcc
	v_lshlrev_b64 v[28:29], 2, v[28:29]
	v_or_b32_e32 v24, 0xffffff80, v24
	v_add_co_u32_e32 v30, vcc, v1, v28
	v_lshrrev_b16_e32 v28, 1, v24
	v_and_b32_e32 v28, 0x7f, v28
	v_mul_lo_u16_e32 v28, 0xb3, v28
	v_lshrrev_b16_e32 v28, 12, v28
	v_add_u32_e32 v52, v49, v28
	v_mul_lo_u16_e32 v28, 46, v28
	v_sub_u16_e32 v32, v24, v28
	v_and_b32_e32 v24, 0xff, v32
	v_addc_co_u32_e32 v31, vcc, v3, v29, vcc
	v_mad_u64_u32 v[28:29], s[0:1], v52, s2, v[24:25]
	v_ashrrev_i32_e32 v29, 31, v28
	v_lshlrev_b64 v[28:29], 2, v[28:29]
	v_add_co_u32_e32 v34, vcc, v1, v28
	v_or_b32_e32 v28, 0xffffff80, v32
	v_addc_co_u32_e32 v35, vcc, v3, v29, vcc
	v_lshrrev_b16_e32 v29, 1, v28
	v_and_b32_e32 v29, 0x7f, v29
	v_mul_lo_u16_e32 v29, 0xb3, v29
	v_lshrrev_b16_e32 v29, 12, v29
	v_add_u32_e32 v53, v52, v29
	v_mul_lo_u16_e32 v29, 46, v29
	v_sub_u16_e32 v29, v28, v29
	v_and_b32_e32 v28, 0xff, v29
	v_mad_u64_u32 v[32:33], s[0:1], v53, s2, v[28:29]
	v_ashrrev_i32_e32 v33, 31, v32
	v_lshlrev_b64 v[32:33], 2, v[32:33]
	v_or_b32_e32 v29, 0xffffff80, v29
	v_add_co_u32_e32 v36, vcc, v1, v32
	v_lshrrev_b16_e32 v32, 1, v29
	v_and_b32_e32 v32, 0x7f, v32
	v_mul_lo_u16_e32 v32, 0xb3, v32
	v_lshrrev_b16_e32 v32, 12, v32
	v_addc_co_u32_e32 v37, vcc, v3, v33, vcc
	v_add_u32_e32 v33, v53, v32
	v_mul_lo_u16_e32 v32, 46, v32
	v_sub_u16_e32 v29, v29, v32
	v_and_b32_e32 v32, 0xff, v29
	v_or_b32_e32 v29, 0xffffff80, v29
	v_lshrrev_b16_e32 v40, 1, v29
	v_and_b32_e32 v40, 0x7f, v40
	v_mul_lo_u16_e32 v40, 0xb3, v40
	v_lshrrev_b16_e32 v40, 12, v40
	v_add_u32_e32 v54, v33, v40
	v_mul_lo_u16_e32 v40, 46, v40
	v_sub_u16_e32 v29, v29, v40
	v_and_b32_e32 v40, 0xff, v29
	v_or_b32_e32 v29, 0xffffff80, v29
	v_lshrrev_b16_e32 v44, 1, v29
	v_and_b32_e32 v44, 0x7f, v44
	v_mul_lo_u16_e32 v44, 0xb3, v44
	v_lshrrev_b16_e32 v44, 12, v44
	v_mul_lo_u16_e32 v46, 46, v44
	v_sub_u16_e32 v29, v29, v46
	v_add_u32_e32 v55, v54, v44
	v_and_b32_e32 v44, 0xff, v29
	v_or_b32_e32 v29, 0xffffff80, v29
	v_lshrrev_b16_e32 v48, 1, v29
	v_mad_u64_u32 v[38:39], s[0:1], v33, s2, v[32:33]
	v_and_b32_e32 v48, 0x7f, v48
	v_ashrrev_i32_e32 v39, 31, v38
	v_mul_lo_u16_e32 v48, 0xb3, v48
	v_lshlrev_b64 v[38:39], 2, v[38:39]
	v_mad_u64_u32 v[42:43], s[0:1], v54, s2, v[40:41]
	v_lshrrev_b16_e32 v48, 12, v48
	v_add_co_u32_e32 v38, vcc, v1, v38
	v_ashrrev_i32_e32 v43, 31, v42
	v_mul_lo_u16_e32 v50, 46, v48
	v_addc_co_u32_e32 v39, vcc, v3, v39, vcc
	v_lshlrev_b64 v[42:43], 2, v[42:43]
	v_mad_u64_u32 v[46:47], s[0:1], v55, s2, v[44:45]
	v_sub_u16_e32 v29, v29, v50
	v_add_co_u32_e32 v42, vcc, v1, v42
	v_ashrrev_i32_e32 v47, 31, v46
	v_add_u32_e32 v56, v55, v48
	v_and_b32_e32 v48, 0xff, v29
	v_addc_co_u32_e32 v43, vcc, v3, v43, vcc
	v_lshlrev_b64 v[46:47], 2, v[46:47]
	v_mad_u64_u32 v[50:51], s[0:1], v56, s2, v[48:49]
	v_add_co_u32_e32 v46, vcc, v1, v46
	v_ashrrev_i32_e32 v51, 31, v50
	v_addc_co_u32_e32 v47, vcc, v3, v47, vcc
	v_lshlrev_b64 v[50:51], 2, v[50:51]
	v_add_co_u32_e32 v50, vcc, v1, v50
	v_addc_co_u32_e32 v51, vcc, v3, v51, vcc
	global_load_dword v57, v[12:13], off
	global_load_dword v58, v[16:17], off
	;; [unrolled: 1-line block ×7, first 2 shown]
                                        ; kill: killed $vgpr26 killed $vgpr27
                                        ; kill: killed $vgpr12 killed $vgpr13
                                        ; kill: killed $vgpr34 killed $vgpr35
                                        ; kill: killed $vgpr20 killed $vgpr21
                                        ; kill: killed $vgpr30 killed $vgpr31
                                        ; kill: killed $vgpr16 killed $vgpr17
                                        ; kill: killed $vgpr36 killed $vgpr37
	global_load_dword v16, v[38:39], off
	global_load_dword v17, v[42:43], off
	;; [unrolled: 1-line block ×4, first 2 shown]
	v_mad_u64_u32 v[12:13], s[0:1], v5, 46, v[2:3]
	v_lshl_add_u32 v2, v12, 2, 0
	v_mad_u64_u32 v[4:5], s[0:1], v7, 46, v[4:5]
	ds_write_b32 v2, v19
	v_lshl_add_u32 v2, v4, 2, 0
	v_mad_u64_u32 v[4:5], s[0:1], v9, 46, v[6:7]
	ds_write_b32 v2, v11
	;; [unrolled: 3-line block ×3, first 2 shown]
	v_lshl_add_u32 v2, v4, 2, 0
	v_mad_u64_u32 v[4:5], s[0:1], v25, 46, v[10:11]
	s_waitcnt vmcnt(10)
	ds_write_b32 v2, v57
	v_lshl_add_u32 v2, v4, 2, 0
	v_mad_u64_u32 v[4:5], s[0:1], v41, 46, v[14:15]
	s_waitcnt vmcnt(9)
	ds_write_b32 v2, v58
	;; [unrolled: 4-line block ×10, first 2 shown]
	v_lshl_add_u32 v2, v4, 2, 0
	s_waitcnt vmcnt(0)
	ds_write_b32 v2, v21
	v_or_b32_e32 v2, 0xffffff80, v29
	v_lshrrev_b16_e32 v4, 1, v2
	v_and_b32_e32 v4, 0x7f, v4
	v_mul_lo_u16_e32 v4, 0xb3, v4
	v_lshrrev_b16_e32 v5, 12, v4
	v_add_u32_e32 v4, v56, v5
	v_mul_lo_u16_e32 v5, 46, v5
	v_sub_u16_e32 v2, v2, v5
	v_and_b32_e32 v2, 0xff, v2
	v_cmp_gt_u32_e32 vcc, s7, v4
	s_and_saveexec_b64 s[0:1], vcc
	s_cbranch_execz .LBB19_2
; %bb.1:
	v_mad_u64_u32 v[6:7], s[8:9], v4, s2, v[2:3]
	v_ashrrev_i32_e32 v7, 31, v6
	v_lshlrev_b64 v[6:7], 2, v[6:7]
	v_add_co_u32_e32 v6, vcc, v1, v6
	v_addc_co_u32_e32 v7, vcc, v3, v7, vcc
	global_load_dword v5, v[6:7], off
	v_mad_u64_u32 v[6:7], s[8:9], v4, 46, v[2:3]
	v_lshl_add_u32 v6, v6, 2, 0
	s_waitcnt vmcnt(0)
	ds_write_b32 v6, v5
.LBB19_2:
	s_or_b64 exec, exec, s[0:1]
	v_or_b32_e32 v2, 0xffffff80, v2
	v_lshrrev_b16_e32 v5, 1, v2
	v_and_b32_e32 v5, 0x7f, v5
	v_mul_lo_u16_e32 v5, 0xb3, v5
	v_lshrrev_b16_e32 v5, 12, v5
	v_add_u32_e32 v4, v4, v5
	v_mul_lo_u16_e32 v5, 46, v5
	v_sub_u16_e32 v2, v2, v5
	v_and_b32_e32 v2, 0xff, v2
	v_cmp_gt_u32_e32 vcc, s7, v4
	s_and_saveexec_b64 s[0:1], vcc
	s_cbranch_execz .LBB19_4
; %bb.3:
	v_mad_u64_u32 v[6:7], s[8:9], v4, s2, v[2:3]
	v_ashrrev_i32_e32 v7, 31, v6
	v_lshlrev_b64 v[6:7], 2, v[6:7]
	v_add_co_u32_e32 v6, vcc, v1, v6
	v_addc_co_u32_e32 v7, vcc, v3, v7, vcc
	global_load_dword v5, v[6:7], off
	v_mad_u64_u32 v[6:7], s[8:9], v4, 46, v[2:3]
	v_lshl_add_u32 v6, v6, 2, 0
	s_waitcnt vmcnt(0)
	ds_write_b32 v6, v5
.LBB19_4:
	s_or_b64 exec, exec, s[0:1]
	;; [unrolled: 25-line block ×12, first 2 shown]
	s_load_dwordx4 s[8:11], s[4:5], 0x8
	s_load_dwordx2 s[0:1], s[4:5], 0x28
	s_movk_i32 s7, 0x380
	v_cmp_gt_u32_e32 vcc, s7, v0
	s_and_saveexec_b64 s[16:17], vcc
	s_cbranch_execz .LBB19_45
; %bb.25:
	v_or_b32_e32 v2, 0xffffff80, v2
	v_lshrrev_b16_e32 v5, 1, v2
	v_and_b32_e32 v5, 0x7f, v5
	v_mul_lo_u16_e32 v5, 0xb3, v5
	v_lshrrev_b16_e32 v5, 12, v5
	v_add_u32_e32 v4, v4, v5
	v_mul_lo_u16_e32 v5, 46, v5
	v_sub_u16_e32 v2, v2, v5
	s_movk_i32 s7, 0x80
	v_and_b32_e32 v2, 0xff, v2
	v_cmp_gt_u32_e32 vcc, s7, v4
	s_and_saveexec_b64 s[18:19], vcc
	s_cbranch_execz .LBB19_27
; %bb.26:
	v_mad_u64_u32 v[6:7], s[20:21], v4, s2, v[2:3]
	v_ashrrev_i32_e32 v7, 31, v6
	v_lshlrev_b64 v[6:7], 2, v[6:7]
	v_add_co_u32_e32 v6, vcc, v1, v6
	v_addc_co_u32_e32 v7, vcc, v3, v7, vcc
	global_load_dword v5, v[6:7], off
	v_mad_u64_u32 v[6:7], s[20:21], v4, 46, v[2:3]
	v_lshl_add_u32 v6, v6, 2, 0
	s_waitcnt vmcnt(0)
	ds_write_b32 v6, v5
.LBB19_27:
	s_or_b64 exec, exec, s[18:19]
	s_movk_i32 s7, 0x300
	v_cmp_gt_u32_e32 vcc, s7, v0
	s_and_b64 exec, exec, vcc
	s_cbranch_execz .LBB19_45
; %bb.28:
	v_or_b32_e32 v2, 0xffffff80, v2
	v_lshrrev_b16_e32 v5, 1, v2
	v_and_b32_e32 v5, 0x7f, v5
	v_mul_lo_u16_e32 v5, 0xb3, v5
	v_lshrrev_b16_e32 v5, 12, v5
	v_add_u32_e32 v4, v4, v5
	v_mul_lo_u16_e32 v5, 46, v5
	v_sub_u16_e32 v2, v2, v5
	s_movk_i32 s7, 0x80
	v_and_b32_e32 v2, 0xff, v2
	v_cmp_gt_u32_e32 vcc, s7, v4
	s_and_saveexec_b64 s[18:19], vcc
	s_cbranch_execz .LBB19_30
; %bb.29:
	v_mad_u64_u32 v[6:7], s[20:21], v4, s2, v[2:3]
	v_ashrrev_i32_e32 v7, 31, v6
	v_lshlrev_b64 v[6:7], 2, v[6:7]
	v_add_co_u32_e32 v6, vcc, v1, v6
	v_addc_co_u32_e32 v7, vcc, v3, v7, vcc
	global_load_dword v5, v[6:7], off
	v_mad_u64_u32 v[6:7], s[20:21], v4, 46, v[2:3]
	v_lshl_add_u32 v6, v6, 2, 0
	s_waitcnt vmcnt(0)
	ds_write_b32 v6, v5
.LBB19_30:
	s_or_b64 exec, exec, s[18:19]
	s_movk_i32 s7, 0x280
	v_cmp_gt_u32_e32 vcc, s7, v0
	s_and_b64 exec, exec, vcc
	;; [unrolled: 31-line block ×5, first 2 shown]
	s_cbranch_execz .LBB19_45
; %bb.40:
	v_or_b32_e32 v2, 0xffffff80, v2
	v_lshrrev_b16_e32 v5, 1, v2
	v_and_b32_e32 v5, 0x7f, v5
	v_mul_lo_u16_e32 v5, 0xb3, v5
	v_lshrrev_b16_e32 v5, 12, v5
	v_add_u32_e32 v4, v4, v5
	v_mul_lo_u16_e32 v5, 46, v5
	v_sub_u16_e32 v2, v2, v5
	s_movk_i32 s7, 0x80
	v_and_b32_e32 v2, 0xff, v2
	v_cmp_gt_u32_e32 vcc, s7, v4
	s_and_saveexec_b64 s[18:19], vcc
	s_cbranch_execz .LBB19_42
; %bb.41:
	v_mad_u64_u32 v[6:7], s[20:21], v4, s2, v[2:3]
	v_ashrrev_i32_e32 v7, 31, v6
	v_lshlrev_b64 v[6:7], 2, v[6:7]
	v_add_co_u32_e32 v6, vcc, v1, v6
	v_addc_co_u32_e32 v7, vcc, v3, v7, vcc
	global_load_dword v5, v[6:7], off
	v_mad_u64_u32 v[6:7], s[20:21], v4, 46, v[2:3]
	v_lshl_add_u32 v6, v6, 2, 0
	s_waitcnt vmcnt(0)
	ds_write_b32 v6, v5
.LBB19_42:
	s_or_b64 exec, exec, s[18:19]
	v_cmp_gt_u32_e32 vcc, s7, v0
	s_and_b64 exec, exec, vcc
	s_cbranch_execz .LBB19_45
; %bb.43:
	v_or_b32_e32 v5, 0x80, v2
	v_lshrrev_b16_e32 v2, 1, v5
	v_mul_lo_u16_e32 v2, 0xb3, v2
	v_lshrrev_b16_e32 v6, 12, v2
	v_add_u32_e32 v2, v4, v6
	v_cmp_gt_u32_e32 vcc, s7, v2
	s_and_b64 exec, exec, vcc
	s_cbranch_execz .LBB19_45
; %bb.44:
	v_mul_lo_u16_e32 v4, 46, v6
	v_sub_u16_e32 v4, v5, v4
	v_and_b32_e32 v4, 0xff, v4
	v_mad_u64_u32 v[6:7], s[18:19], v2, s2, v[4:5]
	v_ashrrev_i32_e32 v7, 31, v6
	v_lshlrev_b64 v[6:7], 2, v[6:7]
	v_add_co_u32_e32 v6, vcc, v1, v6
	v_addc_co_u32_e32 v7, vcc, v3, v7, vcc
	global_load_dword v1, v[6:7], off
	v_mad_u64_u32 v[2:3], s[18:19], v2, 46, v[4:5]
	v_lshl_add_u32 v2, v2, 2, 0
	s_waitcnt vmcnt(0)
	ds_write_b32 v2, v1
.LBB19_45:
	s_or_b64 exec, exec, s[16:17]
	s_ashr_i32 s2, s3, 31
	s_mul_hi_u32 s7, s12, s3
	s_mul_i32 s2, s12, s2
	s_add_i32 s2, s7, s2
	s_mul_i32 s7, s13, s3
	s_add_i32 s2, s2, s7
	s_mul_i32 s7, s12, s3
	s_waitcnt lgkmcnt(0)
	s_add_u32 s7, s8, s7
	s_addc_u32 s2, s9, s2
	s_ashr_i32 s3, s3, 2
	v_mul_lo_u32 v2, s3, v0
	v_ashrrev_i32_e32 v3, 31, v2
	v_lshlrev_b64 v[2:3], 2, v[2:3]
	v_mov_b32_e32 v1, s2
	v_add_co_u32_e32 v18, vcc, s7, v2
	v_addc_co_u32_e32 v19, vcc, v1, v3, vcc
	s_barrier
	global_load_dwordx3 v[14:16], v[18:19], off offset:48
	global_load_dwordx4 v[6:9], v[18:19], off offset:32
	global_load_dwordx4 v[10:13], v[18:19], off offset:16
	global_load_dwordx4 v[2:5], v[18:19], off
	s_cmp_eq_u64 s[10:11], 0
	v_lshlrev_b32_e32 v50, 2, v0
	s_waitcnt vmcnt(3)
	v_mov_b32_e32 v17, v16
	s_cbranch_scc1 .LBB19_47
; %bb.46:
	s_lshl_b64 s[2:3], s[12:13], 2
	s_add_u32 s2, s10, s2
	s_addc_u32 s3, s11, s3
	global_load_dword v18, v50, s[2:3]
	s_branch .LBB19_48
.LBB19_47:
	v_mov_b32_e32 v18, 0
.LBB19_48:
	s_load_dwordx2 s[2:3], s[4:5], 0x40
	s_waitcnt lgkmcnt(0)
	s_sub_u32 s8, s2, s14
	s_subb_u32 s9, s3, s15
	v_cmp_lt_i64_e64 s[2:3], s[8:9], 1
	s_and_b64 vcc, exec, s[2:3]
	s_cbranch_vccnz .LBB19_56
; %bb.49:
	s_load_dwordx4 s[16:19], s[4:5], 0x30
	s_waitcnt vmcnt(0)
	v_mov_b32_e32 v20, v5
	v_mov_b32_e32 v21, v10
	;; [unrolled: 1-line block ×4, first 2 shown]
	s_waitcnt lgkmcnt(0)
	s_ashr_i32 s2, s17, 31
	s_mul_hi_u32 s3, s14, s17
	s_mul_i32 s2, s14, s2
	s_add_i32 s2, s3, s2
	s_mul_i32 s3, s15, s17
	s_add_i32 s15, s2, s3
	s_ashr_i32 s2, s16, 31
	s_mul_hi_u32 s3, s12, s16
	s_mul_i32 s2, s12, s2
	s_mul_i32 s10, s6, s18
	s_add_i32 s2, s3, s2
	s_mul_i32 s3, s13, s16
	s_ashr_i32 s11, s10, 31
	s_add_i32 s13, s2, s3
	s_ashr_i32 s2, s17, 2
	v_cmp_lt_i64_e64 s[6:7], s[8:9], 32
	s_and_b64 s[6:7], s[6:7], exec
	s_cselect_b32 s7, s9, 0
	s_cselect_b32 s6, s8, 32
	s_mul_i32 s14, s14, s17
	s_mul_i32 s12, s12, s16
	v_cmp_gt_i64_e64 s[16:17], s[6:7], 1
	s_and_b64 s[16:17], s[16:17], exec
	s_cselect_b32 s7, s7, 0
	s_cselect_b32 s6, s6, 1
	s_cmp_eq_u64 s[8:9], 1
	s_cselect_b64 s[8:9], -1, 0
	s_cmp_lg_u32 s2, 1
	s_cselect_b64 s[16:17], -1, 0
	s_or_b64 s[8:9], s[8:9], s[16:17]
	v_mov_b32_e32 v12, v13
	v_mov_b32_e32 v13, v6
	;; [unrolled: 1-line block ×7, first 2 shown]
	s_mov_b32 s5, 0
	v_mul_u32_u24_e32 v51, 46, v0
	s_and_b64 vcc, exec, s[8:9]
	s_cbranch_vccnz .LBB19_53
; %bb.50:
	s_add_u32 s3, s0, s10
	s_addc_u32 s4, s1, s11
	s_add_u32 s3, s3, s14
	v_lshl_add_u32 v52, v51, 2, 0
	s_addc_u32 s4, s4, s15
	ds_read2_b32 v[48:49], v52 offset1:1
	s_add_u32 s3, s3, s12
	s_addc_u32 s4, s4, s13
	v_mov_b32_e32 v1, s4
	v_add_co_u32_e32 v0, vcc, s3, v50
	s_and_b32 s4, s6, 62
	v_addc_co_u32_e32 v1, vcc, 0, v1, vcc
	v_mov_b32_e32 v14, v2
	v_mov_b32_e32 v15, v2
	;; [unrolled: 1-line block ×30, first 2 shown]
	s_mov_b64 s[8:9], s[4:5]
.LBB19_51:                              ; =>This Inner Loop Header: Depth=1
	ds_read2_b32 v[54:55], v52 offset0:1 offset1:2
	ds_read2_b32 v[56:57], v52 offset0:3 offset1:4
	s_waitcnt lgkmcnt(2)
	v_pk_fma_f32 v[48:49], v[14:15], v[48:49], 0 op_sel_hi:[1,1,0]
	v_add_u32_e32 v58, 8, v52
	s_add_u32 s8, s8, -2
	s_waitcnt lgkmcnt(1)
	v_pk_fma_f32 v[54:55], v[22:23], v[54:55], v[48:49]
	ds_read2_b32 v[48:49], v52 offset0:2 offset1:3
	s_addc_u32 s9, s9, -1
	s_cmp_lg_u64 s[8:9], 0
	s_waitcnt lgkmcnt(0)
	v_pk_fma_f32 v[54:55], v[4:5], v[48:49], v[54:55]
	v_pk_fma_f32 v[54:55], v[24:25], v[56:57], v[54:55]
	ds_read2_b32 v[56:57], v52 offset0:4 offset1:5
	s_waitcnt lgkmcnt(0)
	v_pk_fma_f32 v[54:55], v[26:27], v[56:57], v[54:55]
	ds_read2_b32 v[56:57], v52 offset0:5 offset1:6
	s_waitcnt lgkmcnt(0)
	;; [unrolled: 3-line block ×9, first 2 shown]
	v_pk_fma_f32 v[54:55], v[42:43], v[56:57], v[54:55]
	ds_read2_b32 v[56:57], v52 offset0:13 offset1:14
	ds_read2_b32 v[52:53], v52 offset0:14 offset1:15
	s_waitcnt lgkmcnt(1)
	v_pk_fma_f32 v[54:55], v[44:45], v[56:57], v[54:55]
	s_waitcnt lgkmcnt(0)
	v_pk_fma_f32 v[52:53], v[46:47], v[52:53], v[54:55]
	v_pk_add_f32 v[52:53], v[18:19], v[52:53]
	global_store_dwordx2 v[0:1], v[52:53], off
	v_add_co_u32_e32 v0, vcc, 8, v0
	v_addc_co_u32_e32 v1, vcc, 0, v1, vcc
	v_mov_b32_e32 v52, v58
	s_cbranch_scc1 .LBB19_51
; %bb.52:
	s_cmp_lg_u64 s[6:7], s[4:5]
	s_cselect_b64 s[8:9], -1, 0
	s_and_b64 vcc, exec, s[8:9]
	s_cbranch_vccnz .LBB19_54
	s_branch .LBB19_56
.LBB19_53:
	s_mov_b64 s[4:5], 0
	s_cbranch_execz .LBB19_56
.LBB19_54:
	s_ashr_i32 s3, s2, 31
	s_sub_u32 s6, s4, s6
	s_subb_u32 s7, s5, s7
	s_add_u32 s5, s12, s14
	s_mul_hi_i32 s9, s4, s2
	s_mul_i32 s8, s4, s2
	s_addc_u32 s12, s13, s15
	s_lshl_b64 s[8:9], s[8:9], 2
	s_add_u32 s5, s5, s8
	s_addc_u32 s8, s12, s9
	v_add_u32_e32 v0, s4, v51
	s_add_u32 s0, s0, s10
	v_lshl_add_u32 v19, v0, 2, 0
	s_addc_u32 s1, s1, s11
	ds_read_b32 v14, v19
	s_add_u32 s0, s0, s5
	s_addc_u32 s1, s1, s8
	v_mov_b32_e32 v1, s1
	v_add_co_u32_e32 v0, vcc, s0, v50
	s_lshl_b64 s[2:3], s[2:3], 2
	v_addc_co_u32_e32 v1, vcc, 0, v1, vcc
	v_mov_b32_e32 v5, s3
.LBB19_55:                              ; =>This Inner Loop Header: Depth=1
	s_waitcnt lgkmcnt(0)
	v_fma_f32 v34, v2, v14, 0
	ds_read2_b32 v[14:15], v19 offset0:1 offset1:2
	ds_read2_b32 v[22:23], v19 offset0:3 offset1:4
	;; [unrolled: 1-line block ×7, first 2 shown]
	s_waitcnt lgkmcnt(6)
	v_fmac_f32_e32 v34, v3, v14
	s_waitcnt lgkmcnt(5)
	v_pk_mul_f32 v[22:23], v[20:21], v[22:23]
	v_fmac_f32_e32 v34, v4, v15
	v_add_f32_e32 v15, v34, v22
	s_waitcnt lgkmcnt(4)
	v_pk_mul_f32 v[24:25], v[10:11], v[24:25]
	v_add_f32_e32 v15, v15, v23
	v_add_f32_e32 v15, v15, v24
	s_waitcnt lgkmcnt(3)
	v_pk_mul_f32 v[26:27], v[12:13], v[26:27]
	v_add_f32_e32 v15, v15, v25
	;; [unrolled: 4-line block ×4, first 2 shown]
	v_add_f32_e32 v15, v15, v30
	s_add_u32 s6, s6, 1
	s_waitcnt lgkmcnt(0)
	v_pk_mul_f32 v[32:33], v[16:17], v[32:33]
	v_add_f32_e32 v15, v15, v31
	s_addc_u32 s7, s7, 0
	v_add_f32_e32 v15, v15, v32
	s_cmp_eq_u64 s[6:7], 0
	v_add_f32_e32 v15, v15, v33
	s_cselect_b64 s[0:1], -1, 0
	v_add_f32_e32 v15, v18, v15
	v_add_u32_e32 v35, 4, v19
	s_andn2_b64 vcc, exec, s[0:1]
	global_store_dword v[0:1], v15, off
	v_add_co_u32_e64 v0, s[0:1], s2, v0
	v_mov_b32_e32 v19, v35
	v_addc_co_u32_e64 v1, s[0:1], v1, v5, s[0:1]
	s_cbranch_vccnz .LBB19_55
.LBB19_56:
	s_endpgm
	.section	.rodata,"a",@progbits
	.p2align	6, 0x0
	.amdhsa_kernel _ZL23ssm_conv_long_token_f32ILb0ELm128ELm15ELl32EEvPKfS1_S1_iiiiPfiiil
		.amdhsa_group_segment_fixed_size 0
		.amdhsa_private_segment_fixed_size 0
		.amdhsa_kernarg_size 72
		.amdhsa_user_sgpr_count 6
		.amdhsa_user_sgpr_private_segment_buffer 1
		.amdhsa_user_sgpr_dispatch_ptr 0
		.amdhsa_user_sgpr_queue_ptr 0
		.amdhsa_user_sgpr_kernarg_segment_ptr 1
		.amdhsa_user_sgpr_dispatch_id 0
		.amdhsa_user_sgpr_flat_scratch_init 0
		.amdhsa_user_sgpr_kernarg_preload_length 0
		.amdhsa_user_sgpr_kernarg_preload_offset 0
		.amdhsa_user_sgpr_private_segment_size 0
		.amdhsa_uses_dynamic_stack 0
		.amdhsa_system_sgpr_private_segment_wavefront_offset 0
		.amdhsa_system_sgpr_workgroup_id_x 1
		.amdhsa_system_sgpr_workgroup_id_y 1
		.amdhsa_system_sgpr_workgroup_id_z 1
		.amdhsa_system_sgpr_workgroup_info 0
		.amdhsa_system_vgpr_workitem_id 0
		.amdhsa_next_free_vgpr 64
		.amdhsa_next_free_sgpr 22
		.amdhsa_accum_offset 64
		.amdhsa_reserve_vcc 1
		.amdhsa_reserve_flat_scratch 0
		.amdhsa_float_round_mode_32 0
		.amdhsa_float_round_mode_16_64 0
		.amdhsa_float_denorm_mode_32 3
		.amdhsa_float_denorm_mode_16_64 3
		.amdhsa_dx10_clamp 1
		.amdhsa_ieee_mode 1
		.amdhsa_fp16_overflow 0
		.amdhsa_tg_split 0
		.amdhsa_exception_fp_ieee_invalid_op 0
		.amdhsa_exception_fp_denorm_src 0
		.amdhsa_exception_fp_ieee_div_zero 0
		.amdhsa_exception_fp_ieee_overflow 0
		.amdhsa_exception_fp_ieee_underflow 0
		.amdhsa_exception_fp_ieee_inexact 0
		.amdhsa_exception_int_div_zero 0
	.end_amdhsa_kernel
	.section	.text._ZL23ssm_conv_long_token_f32ILb0ELm128ELm15ELl32EEvPKfS1_S1_iiiiPfiiil,"axG",@progbits,_ZL23ssm_conv_long_token_f32ILb0ELm128ELm15ELl32EEvPKfS1_S1_iiiiPfiiil,comdat
.Lfunc_end19:
	.size	_ZL23ssm_conv_long_token_f32ILb0ELm128ELm15ELl32EEvPKfS1_S1_iiiiPfiiil, .Lfunc_end19-_ZL23ssm_conv_long_token_f32ILb0ELm128ELm15ELl32EEvPKfS1_S1_iiiiPfiiil
                                        ; -- End function
	.section	.AMDGPU.csdata,"",@progbits
; Kernel info:
; codeLenInByte = 7192
; NumSgprs: 26
; NumVgprs: 64
; NumAgprs: 0
; TotalNumVgprs: 64
; ScratchSize: 0
; MemoryBound: 0
; FloatMode: 240
; IeeeMode: 1
; LDSByteSize: 0 bytes/workgroup (compile time only)
; SGPRBlocks: 3
; VGPRBlocks: 7
; NumSGPRsForWavesPerEU: 26
; NumVGPRsForWavesPerEU: 64
; AccumOffset: 64
; Occupancy: 8
; WaveLimiterHint : 0
; COMPUTE_PGM_RSRC2:SCRATCH_EN: 0
; COMPUTE_PGM_RSRC2:USER_SGPR: 6
; COMPUTE_PGM_RSRC2:TRAP_HANDLER: 0
; COMPUTE_PGM_RSRC2:TGID_X_EN: 1
; COMPUTE_PGM_RSRC2:TGID_Y_EN: 1
; COMPUTE_PGM_RSRC2:TGID_Z_EN: 1
; COMPUTE_PGM_RSRC2:TIDIG_COMP_CNT: 0
; COMPUTE_PGM_RSRC3_GFX90A:ACCUM_OFFSET: 15
; COMPUTE_PGM_RSRC3_GFX90A:TG_SPLIT: 0
	.text
	.p2alignl 6, 3212836864
	.fill 256, 4, 3212836864
	.type	__hip_cuid_fa129ff1ad87c3eb,@object ; @__hip_cuid_fa129ff1ad87c3eb
	.section	.bss,"aw",@nobits
	.globl	__hip_cuid_fa129ff1ad87c3eb
__hip_cuid_fa129ff1ad87c3eb:
	.byte	0                               ; 0x0
	.size	__hip_cuid_fa129ff1ad87c3eb, 1

	.ident	"AMD clang version 19.0.0git (https://github.com/RadeonOpenCompute/llvm-project roc-6.4.0 25133 c7fe45cf4b819c5991fe208aaa96edf142730f1d)"
	.section	".note.GNU-stack","",@progbits
	.addrsig
	.addrsig_sym __hip_cuid_fa129ff1ad87c3eb
	.amdgpu_metadata
---
amdhsa.kernels:
  - .agpr_count:     0
    .args:
      - .address_space:  global
        .offset:         0
        .size:           8
        .value_kind:     global_buffer
      - .address_space:  global
        .offset:         8
        .size:           8
        .value_kind:     global_buffer
      - .address_space:  global
        .offset:         16
        .size:           8
        .value_kind:     global_buffer
      - .offset:         24
        .size:           4
        .value_kind:     by_value
      - .offset:         28
        .size:           4
        .value_kind:     by_value
      - .offset:         32
        .size:           4
        .value_kind:     by_value
      - .offset:         36
        .size:           4
        .value_kind:     by_value
      - .address_space:  global
        .offset:         40
        .size:           8
        .value_kind:     global_buffer
      - .offset:         48
        .size:           4
        .value_kind:     by_value
      - .offset:         52
        .size:           4
        .value_kind:     by_value
      - .offset:         56
        .size:           4
        .value_kind:     by_value
      - .offset:         64
        .size:           8
        .value_kind:     by_value
    .group_segment_fixed_size: 0
    .kernarg_segment_align: 8
    .kernarg_segment_size: 72
    .language:       OpenCL C
    .language_version:
      - 2
      - 0
    .max_flat_workgroup_size: 1024
    .name:           _ZL12ssm_conv_f32ILb1ELm128ELm3EEvPKfS1_S1_iiiiPfiiil
    .private_segment_fixed_size: 0
    .sgpr_count:     48
    .sgpr_spill_count: 0
    .symbol:         _ZL12ssm_conv_f32ILb1ELm128ELm3EEvPKfS1_S1_iiiiPfiiil.kd
    .uniform_work_group_size: 1
    .uses_dynamic_stack: false
    .vgpr_count:     22
    .vgpr_spill_count: 0
    .wavefront_size: 64
  - .agpr_count:     0
    .args:
      - .actual_access:  read_only
        .address_space:  global
        .offset:         0
        .size:           8
        .value_kind:     global_buffer
      - .actual_access:  read_only
        .address_space:  global
        .offset:         8
        .size:           8
        .value_kind:     global_buffer
      - .actual_access:  read_only
        .address_space:  global
        .offset:         16
        .size:           8
        .value_kind:     global_buffer
      - .offset:         24
        .size:           4
        .value_kind:     by_value
      - .offset:         28
        .size:           4
        .value_kind:     by_value
      - .offset:         32
        .size:           4
        .value_kind:     by_value
      - .offset:         36
        .size:           4
        .value_kind:     by_value
      - .actual_access:  write_only
        .address_space:  global
        .offset:         40
        .size:           8
        .value_kind:     global_buffer
      - .offset:         48
        .size:           4
        .value_kind:     by_value
      - .offset:         52
        .size:           4
        .value_kind:     by_value
      - .offset:         56
        .size:           4
        .value_kind:     by_value
      - .offset:         64
        .size:           8
        .value_kind:     by_value
    .group_segment_fixed_size: 0
    .kernarg_segment_align: 8
    .kernarg_segment_size: 72
    .language:       OpenCL C
    .language_version:
      - 2
      - 0
    .max_flat_workgroup_size: 1024
    .name:           _ZL23ssm_conv_long_token_f32ILb1ELm128ELm3ELl32EEvPKfS1_S1_iiiiPfiiil
    .private_segment_fixed_size: 0
    .sgpr_count:     26
    .sgpr_spill_count: 0
    .symbol:         _ZL23ssm_conv_long_token_f32ILb1ELm128ELm3ELl32EEvPKfS1_S1_iiiiPfiiil.kd
    .uniform_work_group_size: 1
    .uses_dynamic_stack: false
    .vgpr_count:     64
    .vgpr_spill_count: 0
    .wavefront_size: 64
  - .agpr_count:     0
    .args:
      - .address_space:  global
        .offset:         0
        .size:           8
        .value_kind:     global_buffer
      - .address_space:  global
        .offset:         8
        .size:           8
        .value_kind:     global_buffer
      - .address_space:  global
        .offset:         16
        .size:           8
        .value_kind:     global_buffer
      - .offset:         24
        .size:           4
        .value_kind:     by_value
      - .offset:         28
        .size:           4
        .value_kind:     by_value
      - .offset:         32
        .size:           4
        .value_kind:     by_value
      - .offset:         36
        .size:           4
        .value_kind:     by_value
      - .address_space:  global
        .offset:         40
        .size:           8
        .value_kind:     global_buffer
      - .offset:         48
        .size:           4
        .value_kind:     by_value
      - .offset:         52
        .size:           4
        .value_kind:     by_value
      - .offset:         56
        .size:           4
        .value_kind:     by_value
      - .offset:         64
        .size:           8
        .value_kind:     by_value
    .group_segment_fixed_size: 0
    .kernarg_segment_align: 8
    .kernarg_segment_size: 72
    .language:       OpenCL C
    .language_version:
      - 2
      - 0
    .max_flat_workgroup_size: 1024
    .name:           _ZL12ssm_conv_f32ILb1ELm128ELm4EEvPKfS1_S1_iiiiPfiiil
    .private_segment_fixed_size: 0
    .sgpr_count:     30
    .sgpr_spill_count: 0
    .symbol:         _ZL12ssm_conv_f32ILb1ELm128ELm4EEvPKfS1_S1_iiiiPfiiil.kd
    .uniform_work_group_size: 1
    .uses_dynamic_stack: false
    .vgpr_count:     22
    .vgpr_spill_count: 0
    .wavefront_size: 64
  - .agpr_count:     0
    .args:
      - .actual_access:  read_only
        .address_space:  global
        .offset:         0
        .size:           8
        .value_kind:     global_buffer
      - .actual_access:  read_only
        .address_space:  global
        .offset:         8
        .size:           8
        .value_kind:     global_buffer
      - .actual_access:  read_only
        .address_space:  global
        .offset:         16
        .size:           8
        .value_kind:     global_buffer
      - .offset:         24
        .size:           4
        .value_kind:     by_value
      - .offset:         28
        .size:           4
        .value_kind:     by_value
      - .offset:         32
        .size:           4
        .value_kind:     by_value
      - .offset:         36
        .size:           4
        .value_kind:     by_value
      - .actual_access:  write_only
        .address_space:  global
        .offset:         40
        .size:           8
        .value_kind:     global_buffer
      - .offset:         48
        .size:           4
        .value_kind:     by_value
      - .offset:         52
        .size:           4
        .value_kind:     by_value
      - .offset:         56
        .size:           4
        .value_kind:     by_value
      - .offset:         64
        .size:           8
        .value_kind:     by_value
    .group_segment_fixed_size: 0
    .kernarg_segment_align: 8
    .kernarg_segment_size: 72
    .language:       OpenCL C
    .language_version:
      - 2
      - 0
    .max_flat_workgroup_size: 1024
    .name:           _ZL23ssm_conv_long_token_f32ILb1ELm128ELm4ELl32EEvPKfS1_S1_iiiiPfiiil
    .private_segment_fixed_size: 0
    .sgpr_count:     26
    .sgpr_spill_count: 0
    .symbol:         _ZL23ssm_conv_long_token_f32ILb1ELm128ELm4ELl32EEvPKfS1_S1_iiiiPfiiil.kd
    .uniform_work_group_size: 1
    .uses_dynamic_stack: false
    .vgpr_count:     64
    .vgpr_spill_count: 0
    .wavefront_size: 64
  - .agpr_count:     0
    .args:
      - .address_space:  global
        .offset:         0
        .size:           8
        .value_kind:     global_buffer
      - .address_space:  global
        .offset:         8
        .size:           8
        .value_kind:     global_buffer
      - .address_space:  global
        .offset:         16
        .size:           8
        .value_kind:     global_buffer
      - .offset:         24
        .size:           4
        .value_kind:     by_value
      - .offset:         28
        .size:           4
        .value_kind:     by_value
      - .offset:         32
        .size:           4
        .value_kind:     by_value
      - .offset:         36
        .size:           4
        .value_kind:     by_value
      - .address_space:  global
        .offset:         40
        .size:           8
        .value_kind:     global_buffer
      - .offset:         48
        .size:           4
        .value_kind:     by_value
      - .offset:         52
        .size:           4
        .value_kind:     by_value
      - .offset:         56
        .size:           4
        .value_kind:     by_value
      - .offset:         64
        .size:           8
        .value_kind:     by_value
    .group_segment_fixed_size: 0
    .kernarg_segment_align: 8
    .kernarg_segment_size: 72
    .language:       OpenCL C
    .language_version:
      - 2
      - 0
    .max_flat_workgroup_size: 1024
    .name:           _ZL12ssm_conv_f32ILb1ELm128ELm5EEvPKfS1_S1_iiiiPfiiil
    .private_segment_fixed_size: 0
    .sgpr_count:     66
    .sgpr_spill_count: 0
    .symbol:         _ZL12ssm_conv_f32ILb1ELm128ELm5EEvPKfS1_S1_iiiiPfiiil.kd
    .uniform_work_group_size: 1
    .uses_dynamic_stack: false
    .vgpr_count:     28
    .vgpr_spill_count: 0
    .wavefront_size: 64
  - .agpr_count:     0
    .args:
      - .actual_access:  read_only
        .address_space:  global
        .offset:         0
        .size:           8
        .value_kind:     global_buffer
      - .actual_access:  read_only
        .address_space:  global
        .offset:         8
        .size:           8
        .value_kind:     global_buffer
      - .actual_access:  read_only
        .address_space:  global
        .offset:         16
        .size:           8
        .value_kind:     global_buffer
      - .offset:         24
        .size:           4
        .value_kind:     by_value
      - .offset:         28
        .size:           4
        .value_kind:     by_value
      - .offset:         32
        .size:           4
        .value_kind:     by_value
      - .offset:         36
        .size:           4
        .value_kind:     by_value
      - .actual_access:  write_only
        .address_space:  global
        .offset:         40
        .size:           8
        .value_kind:     global_buffer
      - .offset:         48
        .size:           4
        .value_kind:     by_value
      - .offset:         52
        .size:           4
        .value_kind:     by_value
      - .offset:         56
        .size:           4
        .value_kind:     by_value
      - .offset:         64
        .size:           8
        .value_kind:     by_value
    .group_segment_fixed_size: 0
    .kernarg_segment_align: 8
    .kernarg_segment_size: 72
    .language:       OpenCL C
    .language_version:
      - 2
      - 0
    .max_flat_workgroup_size: 1024
    .name:           _ZL23ssm_conv_long_token_f32ILb1ELm128ELm5ELl32EEvPKfS1_S1_iiiiPfiiil
    .private_segment_fixed_size: 0
    .sgpr_count:     26
    .sgpr_spill_count: 0
    .symbol:         _ZL23ssm_conv_long_token_f32ILb1ELm128ELm5ELl32EEvPKfS1_S1_iiiiPfiiil.kd
    .uniform_work_group_size: 1
    .uses_dynamic_stack: false
    .vgpr_count:     64
    .vgpr_spill_count: 0
    .wavefront_size: 64
  - .agpr_count:     0
    .args:
      - .address_space:  global
        .offset:         0
        .size:           8
        .value_kind:     global_buffer
      - .address_space:  global
        .offset:         8
        .size:           8
        .value_kind:     global_buffer
      - .address_space:  global
        .offset:         16
        .size:           8
        .value_kind:     global_buffer
      - .offset:         24
        .size:           4
        .value_kind:     by_value
      - .offset:         28
        .size:           4
        .value_kind:     by_value
      - .offset:         32
        .size:           4
        .value_kind:     by_value
      - .offset:         36
        .size:           4
        .value_kind:     by_value
      - .address_space:  global
        .offset:         40
        .size:           8
        .value_kind:     global_buffer
      - .offset:         48
        .size:           4
        .value_kind:     by_value
      - .offset:         52
        .size:           4
        .value_kind:     by_value
      - .offset:         56
        .size:           4
        .value_kind:     by_value
      - .offset:         64
        .size:           8
        .value_kind:     by_value
    .group_segment_fixed_size: 0
    .kernarg_segment_align: 8
    .kernarg_segment_size: 72
    .language:       OpenCL C
    .language_version:
      - 2
      - 0
    .max_flat_workgroup_size: 1024
    .name:           _ZL12ssm_conv_f32ILb1ELm128ELm9EEvPKfS1_S1_iiiiPfiiil
    .private_segment_fixed_size: 0
    .sgpr_count:     83
    .sgpr_spill_count: 0
    .symbol:         _ZL12ssm_conv_f32ILb1ELm128ELm9EEvPKfS1_S1_iiiiPfiiil.kd
    .uniform_work_group_size: 1
    .uses_dynamic_stack: false
    .vgpr_count:     32
    .vgpr_spill_count: 0
    .wavefront_size: 64
  - .agpr_count:     0
    .args:
      - .actual_access:  read_only
        .address_space:  global
        .offset:         0
        .size:           8
        .value_kind:     global_buffer
      - .actual_access:  read_only
        .address_space:  global
        .offset:         8
        .size:           8
        .value_kind:     global_buffer
      - .actual_access:  read_only
        .address_space:  global
        .offset:         16
        .size:           8
        .value_kind:     global_buffer
      - .offset:         24
        .size:           4
        .value_kind:     by_value
      - .offset:         28
        .size:           4
        .value_kind:     by_value
      - .offset:         32
        .size:           4
        .value_kind:     by_value
      - .offset:         36
        .size:           4
        .value_kind:     by_value
      - .actual_access:  write_only
        .address_space:  global
        .offset:         40
        .size:           8
        .value_kind:     global_buffer
      - .offset:         48
        .size:           4
        .value_kind:     by_value
      - .offset:         52
        .size:           4
        .value_kind:     by_value
      - .offset:         56
        .size:           4
        .value_kind:     by_value
      - .offset:         64
        .size:           8
        .value_kind:     by_value
    .group_segment_fixed_size: 0
    .kernarg_segment_align: 8
    .kernarg_segment_size: 72
    .language:       OpenCL C
    .language_version:
      - 2
      - 0
    .max_flat_workgroup_size: 1024
    .name:           _ZL23ssm_conv_long_token_f32ILb1ELm128ELm9ELl32EEvPKfS1_S1_iiiiPfiiil
    .private_segment_fixed_size: 0
    .sgpr_count:     26
    .sgpr_spill_count: 0
    .symbol:         _ZL23ssm_conv_long_token_f32ILb1ELm128ELm9ELl32EEvPKfS1_S1_iiiiPfiiil.kd
    .uniform_work_group_size: 1
    .uses_dynamic_stack: false
    .vgpr_count:     64
    .vgpr_spill_count: 0
    .wavefront_size: 64
  - .agpr_count:     0
    .args:
      - .address_space:  global
        .offset:         0
        .size:           8
        .value_kind:     global_buffer
      - .address_space:  global
        .offset:         8
        .size:           8
        .value_kind:     global_buffer
      - .address_space:  global
        .offset:         16
        .size:           8
        .value_kind:     global_buffer
      - .offset:         24
        .size:           4
        .value_kind:     by_value
      - .offset:         28
        .size:           4
        .value_kind:     by_value
      - .offset:         32
        .size:           4
        .value_kind:     by_value
      - .offset:         36
        .size:           4
        .value_kind:     by_value
      - .address_space:  global
        .offset:         40
        .size:           8
        .value_kind:     global_buffer
      - .offset:         48
        .size:           4
        .value_kind:     by_value
      - .offset:         52
        .size:           4
        .value_kind:     by_value
      - .offset:         56
        .size:           4
        .value_kind:     by_value
      - .offset:         64
        .size:           8
        .value_kind:     by_value
    .group_segment_fixed_size: 0
    .kernarg_segment_align: 8
    .kernarg_segment_size: 72
    .language:       OpenCL C
    .language_version:
      - 2
      - 0
    .max_flat_workgroup_size: 1024
    .name:           _ZL12ssm_conv_f32ILb1ELm128ELm15EEvPKfS1_S1_iiiiPfiiil
    .private_segment_fixed_size: 0
    .sgpr_count:     82
    .sgpr_spill_count: 0
    .symbol:         _ZL12ssm_conv_f32ILb1ELm128ELm15EEvPKfS1_S1_iiiiPfiiil.kd
    .uniform_work_group_size: 1
    .uses_dynamic_stack: false
    .vgpr_count:     45
    .vgpr_spill_count: 0
    .wavefront_size: 64
  - .agpr_count:     0
    .args:
      - .actual_access:  read_only
        .address_space:  global
        .offset:         0
        .size:           8
        .value_kind:     global_buffer
      - .actual_access:  read_only
        .address_space:  global
        .offset:         8
        .size:           8
        .value_kind:     global_buffer
      - .actual_access:  read_only
        .address_space:  global
        .offset:         16
        .size:           8
        .value_kind:     global_buffer
      - .offset:         24
        .size:           4
        .value_kind:     by_value
      - .offset:         28
        .size:           4
        .value_kind:     by_value
      - .offset:         32
        .size:           4
        .value_kind:     by_value
      - .offset:         36
        .size:           4
        .value_kind:     by_value
      - .actual_access:  write_only
        .address_space:  global
        .offset:         40
        .size:           8
        .value_kind:     global_buffer
      - .offset:         48
        .size:           4
        .value_kind:     by_value
      - .offset:         52
        .size:           4
        .value_kind:     by_value
      - .offset:         56
        .size:           4
        .value_kind:     by_value
      - .offset:         64
        .size:           8
        .value_kind:     by_value
    .group_segment_fixed_size: 0
    .kernarg_segment_align: 8
    .kernarg_segment_size: 72
    .language:       OpenCL C
    .language_version:
      - 2
      - 0
    .max_flat_workgroup_size: 1024
    .name:           _ZL23ssm_conv_long_token_f32ILb1ELm128ELm15ELl32EEvPKfS1_S1_iiiiPfiiil
    .private_segment_fixed_size: 0
    .sgpr_count:     26
    .sgpr_spill_count: 0
    .symbol:         _ZL23ssm_conv_long_token_f32ILb1ELm128ELm15ELl32EEvPKfS1_S1_iiiiPfiiil.kd
    .uniform_work_group_size: 1
    .uses_dynamic_stack: false
    .vgpr_count:     64
    .vgpr_spill_count: 0
    .wavefront_size: 64
  - .agpr_count:     0
    .args:
      - .address_space:  global
        .offset:         0
        .size:           8
        .value_kind:     global_buffer
      - .address_space:  global
        .offset:         8
        .size:           8
        .value_kind:     global_buffer
      - .address_space:  global
        .offset:         16
        .size:           8
        .value_kind:     global_buffer
      - .offset:         24
        .size:           4
        .value_kind:     by_value
      - .offset:         28
        .size:           4
        .value_kind:     by_value
      - .offset:         32
        .size:           4
        .value_kind:     by_value
      - .offset:         36
        .size:           4
        .value_kind:     by_value
      - .address_space:  global
        .offset:         40
        .size:           8
        .value_kind:     global_buffer
      - .offset:         48
        .size:           4
        .value_kind:     by_value
      - .offset:         52
        .size:           4
        .value_kind:     by_value
      - .offset:         56
        .size:           4
        .value_kind:     by_value
      - .offset:         64
        .size:           8
        .value_kind:     by_value
    .group_segment_fixed_size: 0
    .kernarg_segment_align: 8
    .kernarg_segment_size: 72
    .language:       OpenCL C
    .language_version:
      - 2
      - 0
    .max_flat_workgroup_size: 1024
    .name:           _ZL12ssm_conv_f32ILb0ELm128ELm3EEvPKfS1_S1_iiiiPfiiil
    .private_segment_fixed_size: 0
    .sgpr_count:     45
    .sgpr_spill_count: 0
    .symbol:         _ZL12ssm_conv_f32ILb0ELm128ELm3EEvPKfS1_S1_iiiiPfiiil.kd
    .uniform_work_group_size: 1
    .uses_dynamic_stack: false
    .vgpr_count:     21
    .vgpr_spill_count: 0
    .wavefront_size: 64
  - .agpr_count:     0
    .args:
      - .actual_access:  read_only
        .address_space:  global
        .offset:         0
        .size:           8
        .value_kind:     global_buffer
      - .actual_access:  read_only
        .address_space:  global
        .offset:         8
        .size:           8
        .value_kind:     global_buffer
      - .actual_access:  read_only
        .address_space:  global
        .offset:         16
        .size:           8
        .value_kind:     global_buffer
      - .offset:         24
        .size:           4
        .value_kind:     by_value
      - .offset:         28
        .size:           4
        .value_kind:     by_value
      - .offset:         32
        .size:           4
        .value_kind:     by_value
      - .offset:         36
        .size:           4
        .value_kind:     by_value
      - .actual_access:  write_only
        .address_space:  global
        .offset:         40
        .size:           8
        .value_kind:     global_buffer
      - .offset:         48
        .size:           4
        .value_kind:     by_value
      - .offset:         52
        .size:           4
        .value_kind:     by_value
      - .offset:         56
        .size:           4
        .value_kind:     by_value
      - .offset:         64
        .size:           8
        .value_kind:     by_value
    .group_segment_fixed_size: 0
    .kernarg_segment_align: 8
    .kernarg_segment_size: 72
    .language:       OpenCL C
    .language_version:
      - 2
      - 0
    .max_flat_workgroup_size: 1024
    .name:           _ZL23ssm_conv_long_token_f32ILb0ELm128ELm3ELl32EEvPKfS1_S1_iiiiPfiiil
    .private_segment_fixed_size: 0
    .sgpr_count:     26
    .sgpr_spill_count: 0
    .symbol:         _ZL23ssm_conv_long_token_f32ILb0ELm128ELm3ELl32EEvPKfS1_S1_iiiiPfiiil.kd
    .uniform_work_group_size: 1
    .uses_dynamic_stack: false
    .vgpr_count:     64
    .vgpr_spill_count: 0
    .wavefront_size: 64
  - .agpr_count:     0
    .args:
      - .address_space:  global
        .offset:         0
        .size:           8
        .value_kind:     global_buffer
      - .address_space:  global
        .offset:         8
        .size:           8
        .value_kind:     global_buffer
      - .address_space:  global
        .offset:         16
        .size:           8
        .value_kind:     global_buffer
      - .offset:         24
        .size:           4
        .value_kind:     by_value
      - .offset:         28
        .size:           4
        .value_kind:     by_value
      - .offset:         32
        .size:           4
        .value_kind:     by_value
      - .offset:         36
        .size:           4
        .value_kind:     by_value
      - .address_space:  global
        .offset:         40
        .size:           8
        .value_kind:     global_buffer
      - .offset:         48
        .size:           4
        .value_kind:     by_value
      - .offset:         52
        .size:           4
        .value_kind:     by_value
      - .offset:         56
        .size:           4
        .value_kind:     by_value
      - .offset:         64
        .size:           8
        .value_kind:     by_value
    .group_segment_fixed_size: 0
    .kernarg_segment_align: 8
    .kernarg_segment_size: 72
    .language:       OpenCL C
    .language_version:
      - 2
      - 0
    .max_flat_workgroup_size: 1024
    .name:           _ZL12ssm_conv_f32ILb0ELm128ELm4EEvPKfS1_S1_iiiiPfiiil
    .private_segment_fixed_size: 0
    .sgpr_count:     25
    .sgpr_spill_count: 0
    .symbol:         _ZL12ssm_conv_f32ILb0ELm128ELm4EEvPKfS1_S1_iiiiPfiiil.kd
    .uniform_work_group_size: 1
    .uses_dynamic_stack: false
    .vgpr_count:     17
    .vgpr_spill_count: 0
    .wavefront_size: 64
  - .agpr_count:     0
    .args:
      - .actual_access:  read_only
        .address_space:  global
        .offset:         0
        .size:           8
        .value_kind:     global_buffer
      - .actual_access:  read_only
        .address_space:  global
        .offset:         8
        .size:           8
        .value_kind:     global_buffer
      - .actual_access:  read_only
        .address_space:  global
        .offset:         16
        .size:           8
        .value_kind:     global_buffer
      - .offset:         24
        .size:           4
        .value_kind:     by_value
      - .offset:         28
        .size:           4
        .value_kind:     by_value
      - .offset:         32
        .size:           4
        .value_kind:     by_value
      - .offset:         36
        .size:           4
        .value_kind:     by_value
      - .actual_access:  write_only
        .address_space:  global
        .offset:         40
        .size:           8
        .value_kind:     global_buffer
      - .offset:         48
        .size:           4
        .value_kind:     by_value
      - .offset:         52
        .size:           4
        .value_kind:     by_value
      - .offset:         56
        .size:           4
        .value_kind:     by_value
      - .offset:         64
        .size:           8
        .value_kind:     by_value
    .group_segment_fixed_size: 0
    .kernarg_segment_align: 8
    .kernarg_segment_size: 72
    .language:       OpenCL C
    .language_version:
      - 2
      - 0
    .max_flat_workgroup_size: 1024
    .name:           _ZL23ssm_conv_long_token_f32ILb0ELm128ELm4ELl32EEvPKfS1_S1_iiiiPfiiil
    .private_segment_fixed_size: 0
    .sgpr_count:     26
    .sgpr_spill_count: 0
    .symbol:         _ZL23ssm_conv_long_token_f32ILb0ELm128ELm4ELl32EEvPKfS1_S1_iiiiPfiiil.kd
    .uniform_work_group_size: 1
    .uses_dynamic_stack: false
    .vgpr_count:     64
    .vgpr_spill_count: 0
    .wavefront_size: 64
  - .agpr_count:     0
    .args:
      - .address_space:  global
        .offset:         0
        .size:           8
        .value_kind:     global_buffer
      - .address_space:  global
        .offset:         8
        .size:           8
        .value_kind:     global_buffer
      - .address_space:  global
        .offset:         16
        .size:           8
        .value_kind:     global_buffer
      - .offset:         24
        .size:           4
        .value_kind:     by_value
      - .offset:         28
        .size:           4
        .value_kind:     by_value
      - .offset:         32
        .size:           4
        .value_kind:     by_value
      - .offset:         36
        .size:           4
        .value_kind:     by_value
      - .address_space:  global
        .offset:         40
        .size:           8
        .value_kind:     global_buffer
      - .offset:         48
        .size:           4
        .value_kind:     by_value
      - .offset:         52
        .size:           4
        .value_kind:     by_value
      - .offset:         56
        .size:           4
        .value_kind:     by_value
      - .offset:         64
        .size:           8
        .value_kind:     by_value
    .group_segment_fixed_size: 0
    .kernarg_segment_align: 8
    .kernarg_segment_size: 72
    .language:       OpenCL C
    .language_version:
      - 2
      - 0
    .max_flat_workgroup_size: 1024
    .name:           _ZL12ssm_conv_f32ILb0ELm128ELm5EEvPKfS1_S1_iiiiPfiiil
    .private_segment_fixed_size: 0
    .sgpr_count:     63
    .sgpr_spill_count: 0
    .symbol:         _ZL12ssm_conv_f32ILb0ELm128ELm5EEvPKfS1_S1_iiiiPfiiil.kd
    .uniform_work_group_size: 1
    .uses_dynamic_stack: false
    .vgpr_count:     27
    .vgpr_spill_count: 0
    .wavefront_size: 64
  - .agpr_count:     0
    .args:
      - .actual_access:  read_only
        .address_space:  global
        .offset:         0
        .size:           8
        .value_kind:     global_buffer
      - .actual_access:  read_only
        .address_space:  global
        .offset:         8
        .size:           8
        .value_kind:     global_buffer
      - .actual_access:  read_only
        .address_space:  global
        .offset:         16
        .size:           8
        .value_kind:     global_buffer
      - .offset:         24
        .size:           4
        .value_kind:     by_value
      - .offset:         28
        .size:           4
        .value_kind:     by_value
      - .offset:         32
        .size:           4
        .value_kind:     by_value
      - .offset:         36
        .size:           4
        .value_kind:     by_value
      - .actual_access:  write_only
        .address_space:  global
        .offset:         40
        .size:           8
        .value_kind:     global_buffer
      - .offset:         48
        .size:           4
        .value_kind:     by_value
      - .offset:         52
        .size:           4
        .value_kind:     by_value
      - .offset:         56
        .size:           4
        .value_kind:     by_value
      - .offset:         64
        .size:           8
        .value_kind:     by_value
    .group_segment_fixed_size: 0
    .kernarg_segment_align: 8
    .kernarg_segment_size: 72
    .language:       OpenCL C
    .language_version:
      - 2
      - 0
    .max_flat_workgroup_size: 1024
    .name:           _ZL23ssm_conv_long_token_f32ILb0ELm128ELm5ELl32EEvPKfS1_S1_iiiiPfiiil
    .private_segment_fixed_size: 0
    .sgpr_count:     26
    .sgpr_spill_count: 0
    .symbol:         _ZL23ssm_conv_long_token_f32ILb0ELm128ELm5ELl32EEvPKfS1_S1_iiiiPfiiil.kd
    .uniform_work_group_size: 1
    .uses_dynamic_stack: false
    .vgpr_count:     64
    .vgpr_spill_count: 0
    .wavefront_size: 64
  - .agpr_count:     0
    .args:
      - .address_space:  global
        .offset:         0
        .size:           8
        .value_kind:     global_buffer
      - .address_space:  global
        .offset:         8
        .size:           8
        .value_kind:     global_buffer
      - .address_space:  global
        .offset:         16
        .size:           8
        .value_kind:     global_buffer
      - .offset:         24
        .size:           4
        .value_kind:     by_value
      - .offset:         28
        .size:           4
        .value_kind:     by_value
      - .offset:         32
        .size:           4
        .value_kind:     by_value
      - .offset:         36
        .size:           4
        .value_kind:     by_value
      - .address_space:  global
        .offset:         40
        .size:           8
        .value_kind:     global_buffer
      - .offset:         48
        .size:           4
        .value_kind:     by_value
      - .offset:         52
        .size:           4
        .value_kind:     by_value
      - .offset:         56
        .size:           4
        .value_kind:     by_value
      - .offset:         64
        .size:           8
        .value_kind:     by_value
    .group_segment_fixed_size: 0
    .kernarg_segment_align: 8
    .kernarg_segment_size: 72
    .language:       OpenCL C
    .language_version:
      - 2
      - 0
    .max_flat_workgroup_size: 1024
    .name:           _ZL12ssm_conv_f32ILb0ELm128ELm9EEvPKfS1_S1_iiiiPfiiil
    .private_segment_fixed_size: 0
    .sgpr_count:     85
    .sgpr_spill_count: 0
    .symbol:         _ZL12ssm_conv_f32ILb0ELm128ELm9EEvPKfS1_S1_iiiiPfiiil.kd
    .uniform_work_group_size: 1
    .uses_dynamic_stack: false
    .vgpr_count:     28
    .vgpr_spill_count: 0
    .wavefront_size: 64
  - .agpr_count:     0
    .args:
      - .actual_access:  read_only
        .address_space:  global
        .offset:         0
        .size:           8
        .value_kind:     global_buffer
      - .actual_access:  read_only
        .address_space:  global
        .offset:         8
        .size:           8
        .value_kind:     global_buffer
      - .actual_access:  read_only
        .address_space:  global
        .offset:         16
        .size:           8
        .value_kind:     global_buffer
      - .offset:         24
        .size:           4
        .value_kind:     by_value
      - .offset:         28
        .size:           4
        .value_kind:     by_value
      - .offset:         32
        .size:           4
        .value_kind:     by_value
      - .offset:         36
        .size:           4
        .value_kind:     by_value
      - .actual_access:  write_only
        .address_space:  global
        .offset:         40
        .size:           8
        .value_kind:     global_buffer
      - .offset:         48
        .size:           4
        .value_kind:     by_value
      - .offset:         52
        .size:           4
        .value_kind:     by_value
      - .offset:         56
        .size:           4
        .value_kind:     by_value
      - .offset:         64
        .size:           8
        .value_kind:     by_value
    .group_segment_fixed_size: 0
    .kernarg_segment_align: 8
    .kernarg_segment_size: 72
    .language:       OpenCL C
    .language_version:
      - 2
      - 0
    .max_flat_workgroup_size: 1024
    .name:           _ZL23ssm_conv_long_token_f32ILb0ELm128ELm9ELl32EEvPKfS1_S1_iiiiPfiiil
    .private_segment_fixed_size: 0
    .sgpr_count:     26
    .sgpr_spill_count: 0
    .symbol:         _ZL23ssm_conv_long_token_f32ILb0ELm128ELm9ELl32EEvPKfS1_S1_iiiiPfiiil.kd
    .uniform_work_group_size: 1
    .uses_dynamic_stack: false
    .vgpr_count:     64
    .vgpr_spill_count: 0
    .wavefront_size: 64
  - .agpr_count:     0
    .args:
      - .address_space:  global
        .offset:         0
        .size:           8
        .value_kind:     global_buffer
      - .address_space:  global
        .offset:         8
        .size:           8
        .value_kind:     global_buffer
      - .address_space:  global
        .offset:         16
        .size:           8
        .value_kind:     global_buffer
      - .offset:         24
        .size:           4
        .value_kind:     by_value
      - .offset:         28
        .size:           4
        .value_kind:     by_value
      - .offset:         32
        .size:           4
        .value_kind:     by_value
      - .offset:         36
        .size:           4
        .value_kind:     by_value
      - .address_space:  global
        .offset:         40
        .size:           8
        .value_kind:     global_buffer
      - .offset:         48
        .size:           4
        .value_kind:     by_value
      - .offset:         52
        .size:           4
        .value_kind:     by_value
      - .offset:         56
        .size:           4
        .value_kind:     by_value
      - .offset:         64
        .size:           8
        .value_kind:     by_value
    .group_segment_fixed_size: 0
    .kernarg_segment_align: 8
    .kernarg_segment_size: 72
    .language:       OpenCL C
    .language_version:
      - 2
      - 0
    .max_flat_workgroup_size: 1024
    .name:           _ZL12ssm_conv_f32ILb0ELm128ELm15EEvPKfS1_S1_iiiiPfiiil
    .private_segment_fixed_size: 0
    .sgpr_count:     82
    .sgpr_spill_count: 0
    .symbol:         _ZL12ssm_conv_f32ILb0ELm128ELm15EEvPKfS1_S1_iiiiPfiiil.kd
    .uniform_work_group_size: 1
    .uses_dynamic_stack: false
    .vgpr_count:     40
    .vgpr_spill_count: 0
    .wavefront_size: 64
  - .agpr_count:     0
    .args:
      - .actual_access:  read_only
        .address_space:  global
        .offset:         0
        .size:           8
        .value_kind:     global_buffer
      - .actual_access:  read_only
        .address_space:  global
        .offset:         8
        .size:           8
        .value_kind:     global_buffer
      - .actual_access:  read_only
        .address_space:  global
        .offset:         16
        .size:           8
        .value_kind:     global_buffer
      - .offset:         24
        .size:           4
        .value_kind:     by_value
      - .offset:         28
        .size:           4
        .value_kind:     by_value
      - .offset:         32
        .size:           4
        .value_kind:     by_value
      - .offset:         36
        .size:           4
        .value_kind:     by_value
      - .actual_access:  write_only
        .address_space:  global
        .offset:         40
        .size:           8
        .value_kind:     global_buffer
      - .offset:         48
        .size:           4
        .value_kind:     by_value
      - .offset:         52
        .size:           4
        .value_kind:     by_value
      - .offset:         56
        .size:           4
        .value_kind:     by_value
      - .offset:         64
        .size:           8
        .value_kind:     by_value
    .group_segment_fixed_size: 0
    .kernarg_segment_align: 8
    .kernarg_segment_size: 72
    .language:       OpenCL C
    .language_version:
      - 2
      - 0
    .max_flat_workgroup_size: 1024
    .name:           _ZL23ssm_conv_long_token_f32ILb0ELm128ELm15ELl32EEvPKfS1_S1_iiiiPfiiil
    .private_segment_fixed_size: 0
    .sgpr_count:     26
    .sgpr_spill_count: 0
    .symbol:         _ZL23ssm_conv_long_token_f32ILb0ELm128ELm15ELl32EEvPKfS1_S1_iiiiPfiiil.kd
    .uniform_work_group_size: 1
    .uses_dynamic_stack: false
    .vgpr_count:     64
    .vgpr_spill_count: 0
    .wavefront_size: 64
amdhsa.target:   amdgcn-amd-amdhsa--gfx90a
amdhsa.version:
  - 1
  - 2
...

	.end_amdgpu_metadata
